;; amdgpu-corpus repo=ROCm/rocFFT kind=compiled arch=gfx950 opt=O3
	.text
	.amdgcn_target "amdgcn-amd-amdhsa--gfx950"
	.amdhsa_code_object_version 6
	.protected	bluestein_single_back_len864_dim1_dp_op_CI_CI ; -- Begin function bluestein_single_back_len864_dim1_dp_op_CI_CI
	.globl	bluestein_single_back_len864_dim1_dp_op_CI_CI
	.p2align	8
	.type	bluestein_single_back_len864_dim1_dp_op_CI_CI,@function
bluestein_single_back_len864_dim1_dp_op_CI_CI: ; @bluestein_single_back_len864_dim1_dp_op_CI_CI
; %bb.0:
	s_load_dwordx4 s[8:11], s[0:1], 0x28
	v_mul_u32_u24_e32 v1, 0x4be, v0
	v_mov_b32_e32 v51, 0
	v_add_u32_sdwa v6, s2, v1 dst_sel:DWORD dst_unused:UNUSED_PAD src0_sel:DWORD src1_sel:WORD_1
	v_mov_b32_e32 v7, v51
	s_waitcnt lgkmcnt(0)
	v_cmp_gt_u64_e32 vcc, s[8:9], v[6:7]
	s_and_saveexec_b64 s[2:3], vcc
	s_cbranch_execz .LBB0_31
; %bb.1:
	s_load_dwordx4 s[4:7], s[0:1], 0x18
	s_load_dwordx2 s[14:15], s[0:1], 0x0
	v_mov_b32_e32 v2, s10
	v_mov_b32_e32 v3, s11
	;; [unrolled: 1-line block ×3, first 2 shown]
	s_waitcnt lgkmcnt(0)
	s_load_dwordx4 s[8:11], s[4:5], 0x0
	v_mul_lo_u16_sdwa v1, v1, v4 dst_sel:DWORD dst_unused:UNUSED_PAD src0_sel:WORD_1 src1_sel:DWORD
	v_sub_u16_e32 v50, v0, v1
	v_accvgpr_write_b32 a62, v6
	v_lshlrev_b32_e32 v44, 4, v50
	s_waitcnt lgkmcnt(0)
	v_mad_u64_u32 v[0:1], s[2:3], s10, v6, 0
	v_mov_b32_e32 v4, v1
	v_mad_u64_u32 v[4:5], s[2:3], s11, v6, v[4:5]
	v_mov_b32_e32 v1, v4
	v_mad_u64_u32 v[4:5], s[2:3], s8, v50, 0
	v_mov_b32_e32 v6, v5
	v_mad_u64_u32 v[6:7], s[2:3], s9, v50, v[6:7]
	s_mul_i32 s2, s9, 0x120
	s_mul_hi_u32 s3, s8, 0x120
	v_mov_b32_e32 v5, v6
	v_lshl_add_u64 v[6:7], v[0:1], 4, v[2:3]
	v_mov_b32_e32 v45, v51
	s_add_i32 s3, s3, s2
	s_mul_i32 s2, s8, 0x120
	v_lshl_add_u64 v[4:5], v[4:5], 4, v[6:7]
	v_lshl_add_u64 v[42:43], s[14:15], 0, v[44:45]
	s_lshl_b64 s[2:3], s[2:3], 4
	s_movk_i32 s4, 0x1000
	v_or_b32_e32 v12, 0x240, v50
	v_lshl_add_u64 v[8:9], v[4:5], 0, s[2:3]
	global_load_dwordx4 v[60:63], v[4:5], off
	global_load_dwordx4 v[0:3], v[8:9], off
	v_add_co_u32_e32 v22, vcc, s4, v42
	v_mad_u64_u32 v[4:5], s[4:5], s8, v12, 0
	v_mov_b32_e32 v10, v5
	v_mad_u64_u32 v[10:11], s[4:5], s9, v12, v[10:11]
	v_mov_b32_e32 v5, v10
	v_addc_co_u32_e32 v23, vcc, 0, v43, vcc
	v_lshl_add_u64 v[10:11], v[4:5], 4, v[6:7]
	global_load_dwordx4 v[46:49], v[22:23], off offset:512
	global_load_dwordx4 v[4:7], v[10:11], off
	global_load_dwordx4 v[132:135], v44, s[14:15]
	v_lshlrev_b32_e32 v10, 4, v12
	v_accvgpr_write_b32 a75, v10
	global_load_dwordx4 v[80:83], v10, s[14:15]
	v_mov_b32_e32 v10, 0xfffff160
	v_accvgpr_write_b32 a6, v12
	v_mad_u64_u32 v[12:13], s[4:5], s8, v10, v[8:9]
	s_mul_i32 s4, s9, 0xfffff160
	s_sub_i32 s4, s4, s8
	v_add_u32_e32 v13, s4, v13
	global_load_dwordx4 v[8:11], v[12:13], off
	global_load_dwordx4 v[84:87], v44, s[14:15] offset:864
	v_lshl_add_u64 v[20:21], v[12:13], 0, s[2:3]
	s_movk_i32 s4, 0x2000
	s_mul_hi_u32 s5, s8, 0xfffffdf6
	global_load_dwordx4 v[88:91], v[22:23], off offset:1376
	v_lshl_add_u64 v[24:25], v[20:21], 0, s[2:3]
	global_load_dwordx4 v[16:19], v[20:21], off
	global_load_dwordx4 v[12:15], v[24:25], off
	v_add_co_u32_e32 v20, vcc, s4, v42
	s_mul_i32 s4, s9, 0xfffffdf6
	s_sub_i32 s5, s5, s8
	v_addc_co_u32_e32 v21, vcc, 0, v43, vcc
	s_add_i32 s17, s5, s4
	s_mul_i32 s16, s8, 0xfffffdf6
	global_load_dwordx4 v[96:99], v[20:21], off offset:1888
	s_lshl_b64 s[4:5], s[16:17], 4
	v_lshl_add_u64 v[24:25], v[24:25], 0, s[4:5]
	global_load_dwordx4 v[26:29], v[24:25], off
	global_load_dwordx4 v[92:95], v44, s[14:15] offset:1728
	v_lshl_add_u64 v[24:25], v[24:25], 0, s[2:3]
	global_load_dwordx4 v[30:33], v[24:25], off
	global_load_dwordx4 v[100:103], v[22:23], off offset:2240
	v_lshl_add_u64 v[24:25], v[24:25], 0, s[2:3]
	global_load_dwordx4 v[34:37], v[24:25], off
	global_load_dwordx4 v[104:107], v[20:21], off offset:2752
	v_lshl_add_u64 v[24:25], v[24:25], 0, s[4:5]
	global_load_dwordx4 v[38:41], v[24:25], off
	global_load_dwordx4 v[112:115], v44, s[14:15] offset:2592
	v_lshl_add_u64 v[24:25], v[24:25], 0, s[2:3]
	global_load_dwordx4 v[52:55], v[24:25], off
	global_load_dwordx4 v[108:111], v[22:23], off offset:3104
	v_lshl_add_u64 v[24:25], v[24:25], 0, s[2:3]
	global_load_dwordx4 v[56:59], v[24:25], off
	global_load_dwordx4 v[116:119], v[20:21], off offset:3616
	v_lshl_add_u64 v[24:25], v[24:25], 0, s[4:5]
	global_load_dwordx4 v[64:67], v[24:25], off
	global_load_dwordx4 v[120:123], v44, s[14:15] offset:3456
	v_lshl_add_u64 v[24:25], v[24:25], 0, s[2:3]
	s_movk_i32 s4, 0x3000
	global_load_dwordx4 v[68:71], v[24:25], off
	global_load_dwordx4 v[124:127], v[22:23], off offset:3968
	v_add_co_u32_e32 v22, vcc, s4, v42
	v_lshl_add_u64 v[24:25], v[24:25], 0, s[2:3]
	s_nop 0
	v_addc_co_u32_e32 v23, vcc, 0, v43, vcc
	global_load_dwordx4 v[72:75], v[24:25], off
	global_load_dwordx4 v[128:131], v[22:23], off offset:384
	v_accvgpr_write_b32 a0, v42
	v_accvgpr_write_b32 a1, v43
	s_load_dwordx2 s[12:13], s[0:1], 0x38
	s_load_dwordx4 s[8:11], s[6:7], 0x0
	v_cmp_gt_u16_e64 s[4:5], 18, v50
	s_waitcnt vmcnt(27)
	v_accvgpr_write_b32 a2, v46
	s_waitcnt vmcnt(25)
	v_mul_f64 v[76:77], v[62:63], v[134:135]
	v_fmac_f64_e32 v[76:77], v[60:61], v[132:133]
	v_mul_f64 v[42:43], v[60:61], v[134:135]
	v_mul_f64 v[60:61], v[2:3], v[48:49]
	v_fmac_f64_e32 v[60:61], v[0:1], v[46:47]
	v_mul_f64 v[0:1], v[0:1], v[48:49]
	v_fma_f64 v[78:79], v[62:63], v[132:133], -v[42:43]
	v_fma_f64 v[62:63], v[2:3], v[46:47], -v[0:1]
	s_waitcnt vmcnt(24)
	v_mul_f64 v[0:1], v[6:7], v[82:83]
	v_mul_f64 v[2:3], v[4:5], v[82:83]
	v_fmac_f64_e32 v[0:1], v[4:5], v[80:81]
	v_fma_f64 v[2:3], v[6:7], v[80:81], -v[2:3]
	ds_write_b128 v44, v[0:3] offset:9216
	s_waitcnt vmcnt(22)
	v_mul_f64 v[0:1], v[10:11], v[86:87]
	v_mul_f64 v[2:3], v[8:9], v[86:87]
	v_fmac_f64_e32 v[0:1], v[8:9], v[84:85]
	v_fma_f64 v[2:3], v[10:11], v[84:85], -v[2:3]
	ds_write_b128 v44, v[0:3] offset:864
	;; [unrolled: 6-line block ×3, first 2 shown]
	v_accvgpr_write_b32 a64, v132
	v_accvgpr_write_b32 a8, v80
	;; [unrolled: 1-line block ×3, first 2 shown]
	s_waitcnt vmcnt(18)
	v_mul_f64 v[0:1], v[14:15], v[98:99]
	v_mul_f64 v[2:3], v[12:13], v[98:99]
	v_fmac_f64_e32 v[0:1], v[12:13], v[96:97]
	v_fma_f64 v[2:3], v[14:15], v[96:97], -v[2:3]
	ds_write_b128 v44, v[0:3] offset:10080
	s_waitcnt vmcnt(16)
	v_mul_f64 v[0:1], v[28:29], v[94:95]
	v_mul_f64 v[2:3], v[26:27], v[94:95]
	v_fmac_f64_e32 v[0:1], v[26:27], v[92:93]
	v_fma_f64 v[2:3], v[28:29], v[92:93], -v[2:3]
	ds_write_b128 v44, v[0:3] offset:1728
	s_waitcnt vmcnt(14)
	v_mul_f64 v[0:1], v[32:33], v[102:103]
	v_mul_f64 v[2:3], v[30:31], v[102:103]
	v_fmac_f64_e32 v[0:1], v[30:31], v[100:101]
	v_fma_f64 v[2:3], v[32:33], v[100:101], -v[2:3]
	ds_write_b128 v44, v[0:3] offset:6336
	s_waitcnt vmcnt(12)
	v_mul_f64 v[0:1], v[36:37], v[106:107]
	v_mul_f64 v[2:3], v[34:35], v[106:107]
	v_fmac_f64_e32 v[0:1], v[34:35], v[104:105]
	v_fma_f64 v[2:3], v[36:37], v[104:105], -v[2:3]
	ds_write_b128 v44, v[0:3] offset:10944
	s_waitcnt vmcnt(10)
	v_mul_f64 v[0:1], v[40:41], v[114:115]
	v_mul_f64 v[2:3], v[38:39], v[114:115]
	v_fmac_f64_e32 v[0:1], v[38:39], v[112:113]
	v_fma_f64 v[2:3], v[40:41], v[112:113], -v[2:3]
	ds_write_b128 v44, v[0:3] offset:2592
	s_waitcnt vmcnt(8)
	v_mul_f64 v[0:1], v[54:55], v[110:111]
	v_mul_f64 v[2:3], v[52:53], v[110:111]
	v_fmac_f64_e32 v[0:1], v[52:53], v[108:109]
	v_fma_f64 v[2:3], v[54:55], v[108:109], -v[2:3]
	ds_write_b128 v44, v[0:3] offset:7200
	s_waitcnt vmcnt(6)
	v_mul_f64 v[0:1], v[58:59], v[118:119]
	v_mul_f64 v[2:3], v[56:57], v[118:119]
	v_fmac_f64_e32 v[0:1], v[56:57], v[116:117]
	v_fma_f64 v[2:3], v[58:59], v[116:117], -v[2:3]
	ds_write_b128 v44, v[0:3] offset:11808
	s_waitcnt vmcnt(4)
	v_mul_f64 v[0:1], v[66:67], v[122:123]
	v_mul_f64 v[2:3], v[64:65], v[122:123]
	v_fmac_f64_e32 v[0:1], v[64:65], v[120:121]
	v_fma_f64 v[2:3], v[66:67], v[120:121], -v[2:3]
	ds_write_b128 v44, v[0:3] offset:3456
	s_waitcnt vmcnt(2)
	v_mul_f64 v[0:1], v[70:71], v[126:127]
	v_mul_f64 v[2:3], v[68:69], v[126:127]
	v_fmac_f64_e32 v[0:1], v[68:69], v[124:125]
	v_fma_f64 v[2:3], v[70:71], v[124:125], -v[2:3]
	v_accvgpr_write_b32 a16, v88
	v_accvgpr_write_b32 a26, v96
	;; [unrolled: 1-line block ×10, first 2 shown]
	ds_write_b128 v44, v[0:3] offset:8064
	s_waitcnt vmcnt(0)
	v_mul_f64 v[0:1], v[74:75], v[130:131]
	v_mul_f64 v[2:3], v[72:73], v[130:131]
	v_accvgpr_write_b32 a58, v128
	v_accvgpr_write_b32 a65, v133
	;; [unrolled: 1-line block ×43, first 2 shown]
	v_fmac_f64_e32 v[0:1], v[72:73], v[128:129]
	v_accvgpr_write_b32 a59, v129
	v_accvgpr_write_b32 a60, v130
	;; [unrolled: 1-line block ×3, first 2 shown]
	v_fma_f64 v[2:3], v[74:75], v[128:129], -v[2:3]
	ds_write_b128 v44, v[76:79]
	ds_write_b128 v44, v[60:63] offset:4608
	ds_write_b128 v44, v[0:3] offset:12672
	s_and_saveexec_b64 s[6:7], s[4:5]
	s_cbranch_execz .LBB0_3
; %bb.2:
	v_accvgpr_read_b32 v5, a1
	v_accvgpr_read_b32 v4, a0
	v_add_co_u32_e32 v4, vcc, 0x1000, v4
	v_lshl_add_u64 v[8:9], s[16:17], 4, v[24:25]
	s_nop 0
	v_addc_co_u32_e32 v5, vcc, 0, v5, vcc
	global_load_dwordx4 v[0:3], v[8:9], off
	v_lshl_add_u64 v[16:17], v[8:9], 0, s[2:3]
	global_load_dwordx4 v[4:7], v[4:5], off offset:224
	s_nop 0
	global_load_dwordx4 v[8:11], v[16:17], off
	global_load_dwordx4 v[12:15], v[20:21], off offset:736
	v_lshl_add_u64 v[20:21], v[16:17], 0, s[2:3]
	global_load_dwordx4 v[16:19], v[22:23], off offset:1248
	global_load_dwordx4 v[24:27], v[20:21], off
	s_waitcnt vmcnt(4)
	v_mul_f64 v[20:21], v[2:3], v[6:7]
	v_mul_f64 v[22:23], v[0:1], v[6:7]
	v_fmac_f64_e32 v[20:21], v[0:1], v[4:5]
	v_fma_f64 v[22:23], v[2:3], v[4:5], -v[22:23]
	s_waitcnt vmcnt(0)
	v_mul_f64 v[0:1], v[26:27], v[18:19]
	v_mul_f64 v[2:3], v[24:25], v[18:19]
	;; [unrolled: 1-line block ×4, first 2 shown]
	v_fmac_f64_e32 v[0:1], v[24:25], v[16:17]
	v_fma_f64 v[2:3], v[26:27], v[16:17], -v[2:3]
	v_fmac_f64_e32 v[6:7], v[8:9], v[12:13]
	v_fma_f64 v[8:9], v[10:11], v[12:13], -v[14:15]
	ds_write_b128 v44, v[20:23] offset:4320
	ds_write_b128 v44, v[6:9] offset:8928
	;; [unrolled: 1-line block ×3, first 2 shown]
.LBB0_3:
	s_or_b64 exec, exec, s[6:7]
	s_waitcnt lgkmcnt(0)
	; wave barrier
	s_waitcnt lgkmcnt(0)
	ds_read_b128 v[4:7], v44
	ds_read_b128 v[64:67], v44 offset:864
	ds_read_b128 v[28:31], v44 offset:9216
	;; [unrolled: 1-line block ×14, first 2 shown]
                                        ; implicit-def: $vgpr128_vgpr129
                                        ; implicit-def: $vgpr8_vgpr9
                                        ; implicit-def: $vgpr68_vgpr69
	s_and_saveexec_b64 s[2:3], s[4:5]
	s_cbranch_execz .LBB0_5
; %bb.4:
	ds_read_b128 v[128:131], v44 offset:4320
	ds_read_b128 v[8:11], v44 offset:8928
	;; [unrolled: 1-line block ×3, first 2 shown]
.LBB0_5:
	s_or_b64 exec, exec, s[2:3]
	s_mov_b64 s[2:3], 0x6c
	v_lshl_add_u64 v[42:43], v[50:51], 0, s[2:3]
	s_mov_b64 s[2:3], 0xa2
	v_lshl_add_u64 v[40:41], v[50:51], 0, s[2:3]
	;; [unrolled: 2-line block ×4, first 2 shown]
	s_waitcnt lgkmcnt(4)
	v_add_f64 v[54:55], v[32:33], v[28:29]
	s_mov_b32 s2, 0xe8584caa
	v_add_f64 v[52:53], v[4:5], v[32:33]
	v_fmac_f64_e32 v[4:5], -0.5, v[54:55]
	v_add_f64 v[54:55], v[34:35], -v[30:31]
	s_mov_b32 s3, 0x3febb67a
	s_mov_b32 s7, 0xbfebb67a
	;; [unrolled: 1-line block ×3, first 2 shown]
	v_fma_f64 v[56:57], s[2:3], v[54:55], v[4:5]
	v_fmac_f64_e32 v[4:5], s[6:7], v[54:55]
	v_add_f64 v[54:55], v[6:7], v[34:35]
	v_add_f64 v[54:55], v[54:55], v[30:31]
	;; [unrolled: 1-line block ×4, first 2 shown]
	v_fmac_f64_e32 v[6:7], -0.5, v[30:31]
	v_add_f64 v[28:29], v[32:33], -v[28:29]
	v_add_f64 v[30:31], v[24:25], v[20:21]
	v_fma_f64 v[58:59], s[6:7], v[28:29], v[6:7]
	v_fmac_f64_e32 v[6:7], s[2:3], v[28:29]
	v_add_f64 v[28:29], v[64:65], v[24:25]
	v_fmac_f64_e32 v[64:65], -0.5, v[30:31]
	v_add_f64 v[30:31], v[26:27], -v[22:23]
	v_fma_f64 v[32:33], s[2:3], v[30:31], v[64:65]
	v_fmac_f64_e32 v[64:65], s[6:7], v[30:31]
	v_add_f64 v[30:31], v[66:67], v[26:27]
	v_add_f64 v[30:31], v[30:31], v[22:23]
	;; [unrolled: 1-line block ×4, first 2 shown]
	v_fmac_f64_e32 v[66:67], -0.5, v[22:23]
	v_add_f64 v[20:21], v[24:25], -v[20:21]
	v_add_f64 v[22:23], v[80:81], v[84:85]
	v_fma_f64 v[34:35], s[6:7], v[20:21], v[66:67]
	v_fmac_f64_e32 v[66:67], s[2:3], v[20:21]
	v_add_f64 v[20:21], v[60:61], v[80:81]
	v_fmac_f64_e32 v[60:61], -0.5, v[22:23]
	v_add_f64 v[22:23], v[82:83], -v[86:87]
	v_add_f64 v[26:27], v[82:83], v[86:87]
	v_fma_f64 v[24:25], s[2:3], v[22:23], v[60:61]
	v_fmac_f64_e32 v[60:61], s[6:7], v[22:23]
	v_add_f64 v[22:23], v[62:63], v[82:83]
	v_fmac_f64_e32 v[62:63], -0.5, v[26:27]
	v_add_f64 v[80:81], v[80:81], -v[84:85]
	s_waitcnt lgkmcnt(2)
	v_add_f64 v[82:83], v[76:77], v[72:73]
	v_fma_f64 v[26:27], s[6:7], v[80:81], v[62:63]
	v_fmac_f64_e32 v[62:63], s[2:3], v[80:81]
	v_add_f64 v[80:81], v[0:1], v[76:77]
	v_fmac_f64_e32 v[0:1], -0.5, v[82:83]
	v_add_f64 v[82:83], v[78:79], -v[74:75]
	v_add_f64 v[20:21], v[20:21], v[84:85]
	v_fma_f64 v[84:85], s[2:3], v[82:83], v[0:1]
	v_fmac_f64_e32 v[0:1], s[6:7], v[82:83]
	v_add_f64 v[82:83], v[2:3], v[78:79]
	v_add_f64 v[82:83], v[82:83], v[74:75]
	;; [unrolled: 1-line block ×4, first 2 shown]
	v_fmac_f64_e32 v[2:3], -0.5, v[74:75]
	v_add_f64 v[72:73], v[76:77], -v[72:73]
	v_add_f64 v[22:23], v[22:23], v[86:87]
	v_fma_f64 v[86:87], s[6:7], v[72:73], v[2:3]
	v_fmac_f64_e32 v[2:3], s[2:3], v[72:73]
	s_waitcnt lgkmcnt(1)
	v_add_f64 v[72:73], v[124:125], v[12:13]
	s_waitcnt lgkmcnt(0)
	v_add_f64 v[120:121], v[72:73], v[16:17]
	v_add_f64 v[72:73], v[12:13], v[16:17]
	v_fmac_f64_e32 v[124:125], -0.5, v[72:73]
	v_add_f64 v[72:73], v[14:15], -v[18:19]
	v_fma_f64 v[132:133], s[2:3], v[72:73], v[124:125]
	v_fmac_f64_e32 v[124:125], s[6:7], v[72:73]
	v_add_f64 v[72:73], v[126:127], v[14:15]
	v_add_f64 v[14:15], v[14:15], v[18:19]
	v_fmac_f64_e32 v[126:127], -0.5, v[14:15]
	v_add_f64 v[12:13], v[12:13], -v[16:17]
	v_fma_f64 v[134:135], s[6:7], v[12:13], v[126:127]
	v_fmac_f64_e32 v[126:127], s[2:3], v[12:13]
	v_add_f64 v[12:13], v[128:129], v[8:9]
	v_add_f64 v[136:137], v[12:13], v[68:69]
	;; [unrolled: 1-line block ×3, first 2 shown]
	v_fmac_f64_e32 v[128:129], -0.5, v[12:13]
	v_add_f64 v[12:13], v[10:11], -v[70:71]
	v_fma_f64 v[144:145], s[2:3], v[12:13], v[128:129]
	v_fmac_f64_e32 v[128:129], s[6:7], v[12:13]
	v_add_f64 v[12:13], v[130:131], v[10:11]
	v_add_f64 v[10:11], v[10:11], v[70:71]
	v_fmac_f64_e32 v[130:131], -0.5, v[10:11]
	v_add_f64 v[8:9], v[8:9], -v[68:69]
	v_fma_f64 v[146:147], s[6:7], v[8:9], v[130:131]
	v_fmac_f64_e32 v[130:131], s[2:3], v[8:9]
	v_mul_lo_u16_e32 v8, 3, v50
	v_lshl_add_u64 v[196:197], v[50:51], 0, 54
	v_lshlrev_b32_e32 v8, 4, v8
	s_waitcnt lgkmcnt(0)
	; wave barrier
	ds_write_b128 v8, v[52:55]
	ds_write_b128 v8, v[56:59] offset:16
	ds_write_b128 v8, v[4:7] offset:32
	v_mul_u32_u24_e32 v4, 3, v196
	v_lshlrev_b32_e32 v4, 4, v4
	ds_write_b128 v4, v[28:31]
	ds_write_b128 v4, v[32:35] offset:16
	v_accvgpr_write_b32 a68, v4
	ds_write_b128 v4, v[64:67] offset:32
	v_mul_u32_u24_e32 v4, 3, v42
	v_lshlrev_b32_e32 v4, 4, v4
	ds_write_b128 v4, v[20:23]
	ds_write_b128 v4, v[24:27] offset:16
	v_accvgpr_write_b32 a69, v4
	ds_write_b128 v4, v[60:63] offset:32
	v_mul_u32_u24_e32 v4, 3, v40
	s_load_dwordx2 s[0:1], s[0:1], 0x8
	v_lshlrev_b32_e32 v4, 4, v4
	ds_write_b128 v4, v[80:83]
	ds_write_b128 v4, v[84:87] offset:16
	ds_write_b128 v4, v[0:3] offset:32
	v_mul_u32_u24_e32 v0, 3, v38
	v_add_f64 v[122:123], v[72:73], v[18:19]
	v_lshlrev_b32_e32 v0, 4, v0
	ds_write_b128 v0, v[120:123]
	ds_write_b128 v0, v[132:135] offset:16
	v_accvgpr_write_b32 a71, v0
	ds_write_b128 v0, v[124:127] offset:32
	v_mul_u32_u24_e32 v0, 3, v36
	v_add_f64 v[138:139], v[12:13], v[70:71]
	v_accvgpr_write_b32 a63, v8
	v_accvgpr_write_b32 a70, v4
	;; [unrolled: 1-line block ×3, first 2 shown]
	s_and_saveexec_b64 s[2:3], s[4:5]
	s_cbranch_execz .LBB0_7
; %bb.6:
	v_accvgpr_read_b32 v0, a72
	v_lshlrev_b32_e32 v0, 4, v0
	ds_write_b128 v0, v[136:139]
	ds_write_b128 v0, v[144:147] offset:16
	ds_write_b128 v0, v[128:131] offset:32
.LBB0_7:
	s_or_b64 exec, exec, s[2:3]
	s_waitcnt lgkmcnt(0)
	; wave barrier
	s_waitcnt lgkmcnt(0)
	ds_read_b128 v[140:143], v44
	ds_read_b128 v[0:3], v44 offset:864
	ds_read_b128 v[184:187], v44 offset:2304
	;; [unrolled: 1-line block ×11, first 2 shown]
	v_cmp_gt_u16_e64 s[2:3], 36, v50
	s_and_saveexec_b64 s[6:7], s[2:3]
	s_cbranch_execz .LBB0_9
; %bb.8:
	ds_read_b128 v[120:123], v44 offset:1728
	ds_read_b128 v[132:135], v44 offset:4032
	;; [unrolled: 1-line block ×6, first 2 shown]
.LBB0_9:
	s_or_b64 exec, exec, s[6:7]
	s_movk_i32 s16, 0xab
	v_mul_lo_u16_sdwa v8, v196, s16 dst_sel:DWORD dst_unused:UNUSED_PAD src0_sel:BYTE_0 src1_sel:DWORD
	v_mul_lo_u16_sdwa v4, v50, s16 dst_sel:DWORD dst_unused:UNUSED_PAD src0_sel:BYTE_0 src1_sel:DWORD
	v_lshrrev_b16_e32 v43, 9, v8
	v_lshrrev_b16_e32 v39, 9, v4
	v_mul_lo_u16_e32 v8, 3, v43
	v_mul_lo_u16_e32 v4, 3, v39
	v_sub_u16_e32 v8, v196, v8
	v_sub_u16_e32 v4, v50, v4
	v_and_b32_e32 v45, 0xff, v8
	v_mul_lo_u16_sdwa v8, v42, s16 dst_sel:DWORD dst_unused:UNUSED_PAD src0_sel:BYTE_0 src1_sel:DWORD
	v_and_b32_e32 v41, 0xff, v4
	s_movk_i32 s17, 0x50
	v_mov_b64_e32 v[4:5], s[0:1]
	v_lshrrev_b16_e32 v46, 9, v8
	v_mad_u64_u32 v[6:7], s[6:7], v41, s17, v[4:5]
	v_mul_lo_u16_e32 v8, 3, v46
	global_load_dwordx4 v[72:75], v[6:7], off
	global_load_dwordx4 v[68:71], v[6:7], off offset:16
	global_load_dwordx4 v[60:63], v[6:7], off offset:48
	;; [unrolled: 1-line block ×4, first 2 shown]
	v_mad_u64_u32 v[6:7], s[6:7], v45, s17, v[4:5]
	v_sub_u16_e32 v8, v42, v8
	global_load_dwordx4 v[88:91], v[6:7], off
	global_load_dwordx4 v[84:87], v[6:7], off offset:16
	global_load_dwordx4 v[80:83], v[6:7], off offset:32
	;; [unrolled: 1-line block ×4, first 2 shown]
	v_and_b32_e32 v6, 0xff, v8
	v_mad_u64_u32 v[4:5], s[6:7], v6, s17, v[4:5]
	global_load_dwordx4 v[112:115], v[4:5], off
	global_load_dwordx4 v[108:111], v[4:5], off offset:16
	global_load_dwordx4 v[104:107], v[4:5], off offset:32
	;; [unrolled: 1-line block ×4, first 2 shown]
	v_accvgpr_write_b32 a7, v6
	s_mov_b32 s6, 0xe8584caa
	s_mov_b32 s7, 0x3febb67a
	;; [unrolled: 1-line block ×4, first 2 shown]
	v_mul_u32_u24_e32 v39, 18, v39
	v_add_lshl_u32 v39, v39, v41, 4
	s_waitcnt lgkmcnt(0)
	; wave barrier
	s_waitcnt lgkmcnt(0)
	v_accvgpr_write_b32 a74, v39
	v_accvgpr_write_b32 a20, v50
	;; [unrolled: 1-line block ×3, first 2 shown]
	s_waitcnt vmcnt(14)
	v_mul_f64 v[4:5], v[186:187], v[74:75]
	s_waitcnt vmcnt(13)
	v_mul_f64 v[6:7], v[182:183], v[70:71]
	;; [unrolled: 2-line block ×3, first 2 shown]
	v_fma_f64 v[52:53], v[180:181], v[68:69], -v[6:7]
	v_fma_f64 v[56:57], v[172:173], v[60:61], -v[10:11]
	v_mul_f64 v[26:27], v[180:181], v[70:71]
	v_mul_f64 v[30:31], v[172:173], v[62:63]
	s_waitcnt vmcnt(8)
	v_mul_f64 v[6:7], v[162:163], v[86:87]
	v_mul_f64 v[180:181], v[160:161], v[86:87]
	s_waitcnt vmcnt(6)
	;; [unrolled: 3-line block ×3, first 2 shown]
	v_mul_f64 v[16:17], v[126:127], v[110:111]
	v_fma_f64 v[160:161], v[160:161], v[84:85], -v[6:7]
	v_mul_f64 v[6:7], v[124:125], v[110:111]
	v_fma_f64 v[148:149], v[148:149], v[92:93], -v[10:11]
	v_fma_f64 v[10:11], v[124:125], v[108:109], -v[16:17]
	s_waitcnt vmcnt(0)
	v_mul_f64 v[20:21], v[130:131], v[118:119]
	v_add_f64 v[124:125], v[140:141], v[52:53]
	v_fmac_f64_e32 v[26:27], v[182:183], v[68:69]
	v_fmac_f64_e32 v[30:31], v[174:175], v[60:61]
	v_fma_f64 v[20:21], v[128:129], v[116:117], -v[20:21]
	v_mul_f64 v[22:23], v[128:129], v[118:119]
	v_add_f64 v[128:129], v[124:125], v[56:57]
	v_add_f64 v[124:125], v[52:53], v[56:57]
	v_mul_f64 v[8:9], v[178:179], v[66:67]
	v_mul_f64 v[12:13], v[170:171], v[78:79]
	v_fmac_f64_e32 v[140:141], -0.5, v[124:125]
	v_add_f64 v[124:125], v[26:27], -v[30:31]
	v_mul_f64 v[28:29], v[176:177], v[66:67]
	v_mul_f64 v[32:33], v[168:169], v[78:79]
	v_fma_f64 v[34:35], v[184:185], v[72:73], -v[4:5]
	v_mul_f64 v[4:5], v[166:167], v[90:91]
	v_fma_f64 v[54:55], v[176:177], v[64:65], -v[8:9]
	v_fma_f64 v[58:59], v[168:169], v[76:77], -v[12:13]
	v_fmac_f64_e32 v[22:23], v[130:131], v[116:117]
	v_fma_f64 v[130:131], s[6:7], v[124:125], v[140:141]
	v_fmac_f64_e32 v[140:141], s[16:17], v[124:125]
	v_add_f64 v[124:125], v[142:143], v[26:27]
	v_add_f64 v[26:27], v[26:27], v[30:31]
	v_mul_f64 v[24:25], v[184:185], v[74:75]
	v_mul_f64 v[184:185], v[164:165], v[90:91]
	v_fmac_f64_e32 v[28:29], v[178:179], v[64:65]
	v_fmac_f64_e32 v[32:33], v[170:171], v[76:77]
	v_fma_f64 v[164:165], v[164:165], v[88:89], -v[4:5]
	v_mul_f64 v[4:5], v[132:133], v[114:115]
	v_fmac_f64_e32 v[142:143], -0.5, v[26:27]
	v_add_f64 v[26:27], v[52:53], -v[56:57]
	v_add_f64 v[52:53], v[54:55], v[58:59]
	v_fmac_f64_e32 v[24:25], v[186:187], v[72:73]
	v_mul_f64 v[14:15], v[134:135], v[114:115]
	v_fmac_f64_e32 v[4:5], v[134:135], v[112:113]
	v_add_f64 v[134:135], v[124:125], v[30:31]
	v_fma_f64 v[30:31], s[16:17], v[26:27], v[142:143]
	v_fmac_f64_e32 v[142:143], s[6:7], v[26:27]
	v_add_f64 v[26:27], v[34:35], v[54:55]
	v_fmac_f64_e32 v[34:35], -0.5, v[52:53]
	v_add_f64 v[52:53], v[28:29], -v[32:33]
	v_fmac_f64_e32 v[6:7], v[126:127], v[108:109]
	v_fma_f64 v[126:127], s[6:7], v[52:53], v[34:35]
	v_fmac_f64_e32 v[34:35], s[16:17], v[52:53]
	v_add_f64 v[52:53], v[24:25], v[28:29]
	v_add_f64 v[28:29], v[28:29], v[32:33]
	v_mul_f64 v[8:9], v[158:159], v[82:83]
	v_mul_f64 v[12:13], v[154:155], v[98:99]
	;; [unrolled: 1-line block ×4, first 2 shown]
	v_fmac_f64_e32 v[24:25], -0.5, v[28:29]
	v_add_f64 v[28:29], v[54:55], -v[58:59]
	v_mul_f64 v[176:177], v[156:157], v[82:83]
	v_fma_f64 v[156:157], v[156:157], v[80:81], -v[8:9]
	v_fmac_f64_e32 v[172:173], v[150:151], v[92:93]
	v_fma_f64 v[150:151], v[152:153], v[96:97], -v[12:13]
	v_fma_f64 v[8:9], v[132:133], v[112:113], -v[14:15]
	;; [unrolled: 1-line block ×3, first 2 shown]
	v_fmac_f64_e32 v[16:17], v[138:139], v[104:105]
	v_mul_f64 v[14:15], v[146:147], v[102:103]
	v_add_f64 v[138:139], v[52:53], v[32:33]
	v_fma_f64 v[32:33], s[16:17], v[28:29], v[24:25]
	v_fmac_f64_e32 v[24:25], s[6:7], v[28:29]
	v_mul_f64 v[136:137], v[34:35], -0.5
	v_fma_f64 v[14:15], v[144:145], v[100:101], -v[14:15]
	v_mul_f64 v[18:19], v[144:145], v[102:103]
	v_add_f64 v[26:27], v[26:27], v[58:59]
	v_mul_f64 v[28:29], v[32:33], s[6:7]
	v_fmac_f64_e32 v[136:137], s[6:7], v[24:25]
	v_mul_f64 v[144:145], v[126:127], s[16:17]
	v_mul_f64 v[24:25], v[24:25], -0.5
	v_fmac_f64_e32 v[180:181], v[162:163], v[84:85]
	v_add_f64 v[52:53], v[128:129], v[26:27]
	v_fmac_f64_e32 v[28:29], 0.5, v[126:127]
	v_fmac_f64_e32 v[144:145], 0.5, v[32:33]
	v_fmac_f64_e32 v[24:25], s[16:17], v[34:35]
	v_add_f64 v[128:129], v[128:129], -v[26:27]
	v_add_f64 v[26:27], v[160:161], v[148:149]
	v_mul_f64 v[168:169], v[152:153], v[98:99]
	v_add_f64 v[56:57], v[130:131], v[28:29]
	v_add_f64 v[54:55], v[134:135], v[138:139]
	;; [unrolled: 1-line block ×4, first 2 shown]
	v_add_f64 v[132:133], v[130:131], -v[28:29]
	v_add_f64 v[130:131], v[134:135], -v[138:139]
	;; [unrolled: 1-line block ×4, first 2 shown]
	v_add_f64 v[24:25], v[0:1], v[160:161]
	v_fmac_f64_e32 v[0:1], -0.5, v[26:27]
	v_add_f64 v[26:27], v[180:181], -v[172:173]
	v_add_f64 v[30:31], v[180:181], v[172:173]
	v_fmac_f64_e32 v[176:177], v[158:159], v[80:81]
	v_fmac_f64_e32 v[168:169], v[154:155], v[96:97]
	v_fma_f64 v[28:29], s[6:7], v[26:27], v[0:1]
	v_fmac_f64_e32 v[0:1], s[16:17], v[26:27]
	v_add_f64 v[26:27], v[2:3], v[180:181]
	v_fmac_f64_e32 v[2:3], -0.5, v[30:31]
	v_add_f64 v[30:31], v[160:161], -v[148:149]
	v_add_f64 v[34:35], v[156:157], v[150:151]
	v_fmac_f64_e32 v[184:185], v[166:167], v[88:89]
	v_add_f64 v[124:125], v[140:141], v[136:137]
	v_add_f64 v[136:137], v[140:141], -v[136:137]
	v_fma_f64 v[32:33], s[16:17], v[30:31], v[2:3]
	v_fmac_f64_e32 v[2:3], s[6:7], v[30:31]
	v_add_f64 v[30:31], v[164:165], v[156:157]
	v_fmac_f64_e32 v[164:165], -0.5, v[34:35]
	v_add_f64 v[34:35], v[176:177], -v[168:169]
	v_add_f64 v[140:141], v[176:177], v[168:169]
	v_fmac_f64_e32 v[18:19], v[146:147], v[100:101]
	v_fma_f64 v[146:147], s[6:7], v[34:35], v[164:165]
	v_fmac_f64_e32 v[164:165], s[16:17], v[34:35]
	v_add_f64 v[34:35], v[184:185], v[176:177]
	v_fmac_f64_e32 v[184:185], -0.5, v[140:141]
	v_add_f64 v[140:141], v[156:157], -v[150:151]
	v_add_f64 v[30:31], v[30:31], v[150:151]
	v_fma_f64 v[150:151], s[16:17], v[140:141], v[184:185]
	v_fmac_f64_e32 v[184:185], s[6:7], v[140:141]
	v_mul_f64 v[158:159], v[164:165], -0.5
	v_fmac_f64_e32 v[158:159], s[6:7], v[184:185]
	v_mul_f64 v[162:163], v[146:147], s[16:17]
	v_mul_f64 v[166:167], v[184:185], -0.5
	v_add_f64 v[24:25], v[24:25], v[148:149]
	v_mul_f64 v[154:155], v[150:151], s[6:7]
	v_add_f64 v[148:149], v[0:1], v[158:159]
	v_fmac_f64_e32 v[162:163], 0.5, v[150:151]
	v_fmac_f64_e32 v[166:167], s[16:17], v[164:165]
	v_add_f64 v[160:161], v[0:1], -v[158:159]
	v_add_f64 v[0:1], v[10:11], v[14:15]
	v_add_f64 v[140:141], v[24:25], v[30:31]
	v_fmac_f64_e32 v[154:155], 0.5, v[146:147]
	v_add_f64 v[146:147], v[32:33], v[162:163]
	v_add_f64 v[150:151], v[2:3], v[166:167]
	v_add_f64 v[152:153], v[24:25], -v[30:31]
	v_add_f64 v[158:159], v[32:33], -v[162:163]
	;; [unrolled: 1-line block ×3, first 2 shown]
	v_fma_f64 v[2:3], -0.5, v[0:1], v[120:121]
	v_add_f64 v[24:25], v[6:7], -v[18:19]
	v_add_f64 v[26:27], v[26:27], v[172:173]
	v_add_f64 v[34:35], v[34:35], v[168:169]
	v_fma_f64 v[0:1], s[6:7], v[24:25], v[2:3]
	v_fmac_f64_e32 v[2:3], s[16:17], v[24:25]
	v_add_f64 v[24:25], v[6:7], v[18:19]
	v_add_f64 v[144:145], v[28:29], v[154:155]
	;; [unrolled: 1-line block ×3, first 2 shown]
	v_add_f64 v[156:157], v[28:29], -v[154:155]
	v_add_f64 v[154:155], v[26:27], -v[34:35]
	v_fma_f64 v[26:27], -0.5, v[24:25], v[122:123]
	v_add_f64 v[28:29], v[10:11], -v[14:15]
	v_fma_f64 v[24:25], s[16:17], v[28:29], v[26:27]
	v_fmac_f64_e32 v[26:27], s[6:7], v[28:29]
	v_add_f64 v[28:29], v[12:13], v[20:21]
	v_fma_f64 v[164:165], -0.5, v[28:29], v[8:9]
	v_add_f64 v[28:29], v[16:17], -v[22:23]
	v_fma_f64 v[32:33], s[6:7], v[28:29], v[164:165]
	v_fmac_f64_e32 v[164:165], s[16:17], v[28:29]
	v_add_f64 v[28:29], v[16:17], v[22:23]
	v_fma_f64 v[34:35], -0.5, v[28:29], v[4:5]
	v_add_f64 v[28:29], v[12:13], -v[20:21]
	v_fma_f64 v[166:167], s[16:17], v[28:29], v[34:35]
	v_fmac_f64_e32 v[34:35], s[6:7], v[28:29]
	v_mul_f64 v[28:29], v[166:167], s[6:7]
	v_mul_f64 v[30:31], v[164:165], -0.5
	v_fmac_f64_e32 v[28:29], 0.5, v[32:33]
	v_fmac_f64_e32 v[30:31], s[6:7], v[34:35]
	v_mul_f64 v[32:33], v[32:33], s[16:17]
	v_mul_f64 v[34:35], v[34:35], -0.5
	ds_write_b128 v39, v[52:55]
	ds_write_b128 v39, v[56:59] offset:48
	ds_write_b128 v39, v[124:127] offset:96
	;; [unrolled: 1-line block ×5, first 2 shown]
	v_mul_u32_u24_e32 v39, 18, v43
	v_fmac_f64_e32 v[32:33], 0.5, v[166:167]
	v_fmac_f64_e32 v[34:35], s[16:17], v[164:165]
	v_add_lshl_u32 v45, v39, v45, 4
	v_mul_u32_u24_e32 v39, 18, v46
	v_add_f64 v[232:233], v[0:1], -v[28:29]
	v_add_f64 v[236:237], v[2:3], -v[30:31]
	;; [unrolled: 1-line block ×4, first 2 shown]
	v_accvgpr_write_b32 a73, v39
	ds_write_b128 v45, v[140:143]
	ds_write_b128 v45, v[144:147] offset:48
	ds_write_b128 v45, v[148:151] offset:96
	;; [unrolled: 1-line block ×5, first 2 shown]
	s_and_saveexec_b64 s[6:7], s[2:3]
	s_cbranch_execz .LBB0_11
; %bb.10:
	v_add_f64 v[4:5], v[4:5], v[16:17]
	v_add_f64 v[16:17], v[4:5], v[22:23]
	;; [unrolled: 1-line block ×9, first 2 shown]
	v_accvgpr_read_b32 v0, a7
	v_accvgpr_read_b32 v1, a73
	v_add_f64 v[6:7], v[18:19], -v[16:17]
	v_add_f64 v[18:19], v[18:19], v[16:17]
	v_add_f64 v[16:17], v[22:23], v[20:21]
	v_add_lshl_u32 v0, v1, v0, 4
	v_add_f64 v[4:5], v[22:23], -v[20:21]
	v_add_f64 v[10:11], v[26:27], v[34:35]
	v_add_f64 v[14:15], v[24:25], v[32:33]
	;; [unrolled: 1-line block ×3, first 2 shown]
	ds_write_b128 v0, v[16:19]
	ds_write_b128 v0, v[12:15] offset:48
	ds_write_b128 v0, v[8:11] offset:96
	;; [unrolled: 1-line block ×5, first 2 shown]
.LBB0_11:
	s_or_b64 exec, exec, s[6:7]
	v_accvgpr_read_b32 v27, a21
	v_mov_b32_e32 v20, 57
	v_accvgpr_read_b32 v26, a20
	v_mul_lo_u16_sdwa v20, v26, v20 dst_sel:DWORD dst_unused:UNUSED_PAD src0_sel:BYTE_0 src1_sel:DWORD
	v_lshrrev_b16_e32 v39, 10, v20
	v_mul_lo_u16_e32 v20, 18, v39
	v_sub_u16_e32 v20, v26, v20
	v_and_b32_e32 v41, 0xff, v20
	s_movk_i32 s6, 0xf0
	v_mov_b64_e32 v[20:21], s[0:1]
	v_mad_u64_u32 v[202:203], s[6:7], v41, s6, v[20:21]
	s_waitcnt lgkmcnt(0)
	; wave barrier
	s_waitcnt lgkmcnt(0)
	ds_read_b128 v[0:3], v44
	ds_read_b128 v[22:25], v44 offset:864
	ds_read_b128 v[30:33], v44 offset:1728
	;; [unrolled: 1-line block ×15, first 2 shown]
	global_load_dwordx4 v[120:123], v[202:203], off offset:288
	global_load_dwordx4 v[124:127], v[202:203], off offset:272
	;; [unrolled: 1-line block ×12, first 2 shown]
	s_mov_b32 s6, 0x667f3bcd
	s_mov_b32 s7, 0xbfe6a09e
	s_mov_b32 s17, 0x3fe6a09e
	s_mov_b32 s16, s6
	s_mov_b32 s20, 0xcf328d46
	s_mov_b32 s21, 0xbfed906b
	s_mov_b32 s18, 0xa6aea964
	s_mov_b32 s19, 0xbfd87de2
	s_mov_b32 s23, 0x3fd87de2
	s_mov_b32 s22, s18
	s_mov_b32 s25, 0x3fed906b
	s_mov_b32 s24, s20
	v_mul_u32_u24_e32 v39, 0x120, v39
	v_or_b32_e32 v39, v39, v41
	s_waitcnt vmcnt(11) lgkmcnt(11)
	v_mul_f64 v[34:35], v[56:57], v[122:123]
	s_waitcnt vmcnt(10)
	v_mul_f64 v[26:27], v[52:53], v[126:127]
	v_fmac_f64_e32 v[26:27], v[54:55], v[124:125]
	s_waitcnt vmcnt(8)
	v_mul_f64 v[20:21], v[24:25], v[146:147]
	v_fma_f64 v[20:21], v[22:23], v[144:145], -v[20:21]
	v_mul_f64 v[22:23], v[22:23], v[146:147]
	v_fmac_f64_e32 v[22:23], v[24:25], v[144:145]
	v_mul_f64 v[24:25], v[32:33], v[130:131]
	v_fma_f64 v[28:29], v[30:31], v[128:129], -v[24:25]
	v_mul_f64 v[24:25], v[54:55], v[126:127]
	v_fma_f64 v[24:25], v[52:53], v[124:125], -v[24:25]
	s_waitcnt vmcnt(4) lgkmcnt(10)
	v_mul_f64 v[52:53], v[18:19], v[162:163]
	v_fma_f64 v[198:199], v[16:17], v[160:161], -v[52:53]
	v_mul_f64 v[16:17], v[16:17], v[162:163]
	v_fmac_f64_e32 v[16:17], v[18:19], v[160:161]
	s_waitcnt lgkmcnt(9)
	v_mul_f64 v[18:19], v[14:15], v[142:143]
	v_fma_f64 v[18:19], v[12:13], v[140:141], -v[18:19]
	v_mul_f64 v[200:201], v[12:13], v[142:143]
	s_waitcnt lgkmcnt(8)
	v_mul_f64 v[12:13], v[10:11], v[138:139]
	v_fma_f64 v[12:13], v[8:9], v[136:137], -v[12:13]
	v_mul_f64 v[8:9], v[8:9], v[138:139]
	v_mul_f64 v[30:31], v[30:31], v[130:131]
	v_fmac_f64_e32 v[8:9], v[10:11], v[136:137]
	s_waitcnt lgkmcnt(7)
	v_mul_f64 v[10:11], v[6:7], v[134:135]
	v_fmac_f64_e32 v[30:31], v[32:33], v[128:129]
	v_mul_f64 v[32:33], v[58:59], v[122:123]
	v_fma_f64 v[10:11], v[4:5], v[132:133], -v[10:11]
	v_mul_f64 v[4:5], v[4:5], v[134:135]
	v_fma_f64 v[32:33], v[56:57], v[120:121], -v[32:33]
	v_fmac_f64_e32 v[200:201], v[14:15], v[140:141]
	v_fmac_f64_e32 v[4:5], v[6:7], v[132:133]
	s_waitcnt vmcnt(0) lgkmcnt(6)
	v_mul_f64 v[6:7], v[194:195], v[174:175]
	v_mul_f64 v[14:15], v[192:193], v[174:175]
	s_waitcnt lgkmcnt(4)
	v_mul_f64 v[56:57], v[170:171], v[154:155]
	v_fma_f64 v[6:7], v[192:193], v[172:173], -v[6:7]
	v_fmac_f64_e32 v[14:15], v[194:195], v[172:173]
	v_mul_f64 v[52:53], v[178:179], v[158:159]
	v_mul_f64 v[54:55], v[176:177], v[158:159]
	v_fma_f64 v[192:193], v[168:169], v[152:153], -v[56:57]
	v_mul_f64 v[194:195], v[168:169], v[154:155]
	s_waitcnt lgkmcnt(3)
	v_mul_f64 v[56:57], v[166:167], v[150:151]
	v_mul_f64 v[206:207], v[164:165], v[150:151]
	v_fma_f64 v[52:53], v[176:177], v[156:157], -v[52:53]
	v_fmac_f64_e32 v[54:55], v[178:179], v[156:157]
	v_fmac_f64_e32 v[194:195], v[170:171], v[152:153]
	v_fma_f64 v[204:205], v[164:165], v[148:149], -v[56:57]
	v_fmac_f64_e32 v[206:207], v[166:167], v[148:149]
	global_load_dwordx4 v[164:167], v[202:203], off offset:464
	global_load_dwordx4 v[168:171], v[202:203], off offset:448
	global_load_dwordx4 v[176:179], v[202:203], off offset:432
	v_fmac_f64_e32 v[34:35], v[58:59], v[120:121]
	v_add_f64 v[4:5], v[2:3], -v[4:5]
	v_add_f64 v[54:55], v[30:31], -v[54:55]
	;; [unrolled: 1-line block ×8, first 2 shown]
	v_fma_f64 v[0:1], v[0:1], 2.0, -v[10:11]
	v_fma_f64 v[2:3], v[2:3], 2.0, -v[4:5]
	;; [unrolled: 1-line block ×8, first 2 shown]
	s_waitcnt lgkmcnt(0)
	; wave barrier
	s_waitcnt vmcnt(0) lgkmcnt(0)
	v_mul_f64 v[56:57], v[190:191], v[178:179]
	v_fma_f64 v[56:57], v[188:189], v[176:177], -v[56:57]
	v_mul_f64 v[58:59], v[188:189], v[178:179]
	v_mul_f64 v[188:189], v[186:187], v[170:171]
	v_fma_f64 v[188:189], v[184:185], v[168:169], -v[188:189]
	v_mul_f64 v[184:185], v[184:185], v[170:171]
	v_fmac_f64_e32 v[184:185], v[186:187], v[168:169]
	v_mul_f64 v[186:187], v[182:183], v[166:167]
	v_fma_f64 v[186:187], v[180:181], v[164:165], -v[186:187]
	v_mul_f64 v[180:181], v[180:181], v[166:167]
	v_fmac_f64_e32 v[58:59], v[190:191], v[176:177]
	v_fmac_f64_e32 v[180:181], v[182:183], v[164:165]
	v_add_f64 v[182:183], v[32:33], -v[204:205]
	v_add_f64 v[188:189], v[18:19], -v[188:189]
	;; [unrolled: 1-line block ×5, first 2 shown]
	v_fma_f64 v[32:33], v[32:33], 2.0, -v[182:183]
	v_add_f64 v[184:185], v[200:201], -v[184:185]
	v_fma_f64 v[18:19], v[18:19], 2.0, -v[188:189]
	v_add_f64 v[58:59], v[16:17], -v[58:59]
	;; [unrolled: 2-line block ×3, first 2 shown]
	v_fma_f64 v[12:13], v[12:13], 2.0, -v[186:187]
	v_add_f64 v[182:183], v[4:5], v[182:183]
	v_add_f64 v[188:189], v[54:55], v[188:189]
	;; [unrolled: 1-line block ×4, first 2 shown]
	v_fma_f64 v[34:35], v[34:35], 2.0, -v[190:191]
	v_fma_f64 v[200:201], v[200:201], 2.0, -v[184:185]
	;; [unrolled: 1-line block ×4, first 2 shown]
	v_add_f64 v[190:191], v[10:11], -v[190:191]
	v_fma_f64 v[4:5], v[4:5], 2.0, -v[182:183]
	v_add_f64 v[184:185], v[52:53], -v[184:185]
	v_fma_f64 v[54:55], v[54:55], 2.0, -v[188:189]
	;; [unrolled: 2-line block ×4, first 2 shown]
	v_add_f64 v[32:33], v[0:1], -v[32:33]
	v_add_f64 v[34:35], v[2:3], -v[34:35]
	v_fma_f64 v[10:11], v[10:11], 2.0, -v[190:191]
	v_add_f64 v[18:19], v[28:29], -v[18:19]
	v_add_f64 v[200:201], v[30:31], -v[200:201]
	v_fma_f64 v[52:53], v[52:53], 2.0, -v[184:185]
	;; [unrolled: 3-line block ×4, first 2 shown]
	v_fma_f64 v[208:209], s[6:7], v[54:55], v[4:5]
	v_fma_f64 v[212:213], s[16:17], v[184:185], v[190:191]
	v_fma_f64 v[218:219], s[6:7], v[194:195], v[14:15]
	v_fma_f64 v[0:1], v[0:1], 2.0, -v[32:33]
	v_fma_f64 v[2:3], v[2:3], 2.0, -v[34:35]
	;; [unrolled: 1-line block ×8, first 2 shown]
	v_fma_f64 v[206:207], s[6:7], v[52:53], v[10:11]
	v_fmac_f64_e32 v[208:209], s[16:17], v[52:53]
	v_fma_f64 v[214:215], s[16:17], v[188:189], v[182:183]
	v_fmac_f64_e32 v[212:213], s[6:7], v[188:189]
	;; [unrolled: 2-line block ×3, first 2 shown]
	v_add_f64 v[202:203], v[0:1], -v[28:29]
	v_add_f64 v[204:205], v[2:3], -v[30:31]
	v_fmac_f64_e32 v[206:207], s[6:7], v[54:55]
	v_fma_f64 v[54:55], v[4:5], 2.0, -v[208:209]
	v_add_f64 v[200:201], v[32:33], -v[200:201]
	v_add_f64 v[210:211], v[34:35], v[18:19]
	v_fmac_f64_e32 v[214:215], s[16:17], v[184:185]
	v_fma_f64 v[184:185], v[190:191], 2.0, -v[212:213]
	v_add_f64 v[188:189], v[20:21], -v[24:25]
	v_add_f64 v[190:191], v[22:23], -v[26:27]
	v_fmac_f64_e32 v[216:217], s[6:7], v[194:195]
	v_fma_f64 v[14:15], v[14:15], 2.0, -v[218:219]
	v_add_f64 v[192:193], v[198:199], -v[8:9]
	v_add_f64 v[194:195], v[16:17], v[12:13]
	v_fma_f64 v[220:221], s[16:17], v[186:187], v[56:57]
	v_fma_f64 v[28:29], v[0:1], 2.0, -v[202:203]
	v_fma_f64 v[30:31], v[2:3], 2.0, -v[204:205]
	;; [unrolled: 1-line block ×10, first 2 shown]
	v_fma_f64 v[198:199], s[16:17], v[180:181], v[58:59]
	v_fmac_f64_e32 v[220:221], s[16:17], v[180:181]
	v_fma_f64 v[10:11], s[20:21], v[14:15], v[54:55]
	v_fma_f64 v[182:183], v[182:183], 2.0, -v[214:215]
	v_fmac_f64_e32 v[198:199], s[6:7], v[186:187]
	v_fma_f64 v[56:57], v[56:57], 2.0, -v[220:221]
	v_fma_f64 v[8:9], s[20:21], v[18:19], v[52:53]
	v_fmac_f64_e32 v[10:11], s[22:23], v[18:19]
	v_fma_f64 v[16:17], s[6:7], v[20:21], v[32:33]
	v_fma_f64 v[18:19], s[6:7], v[22:23], v[34:35]
	v_fma_f64 v[58:59], v[58:59], 2.0, -v[198:199]
	v_fmac_f64_e32 v[16:17], s[6:7], v[22:23]
	v_fmac_f64_e32 v[18:19], s[16:17], v[20:21]
	v_fma_f64 v[26:27], s[18:19], v[56:57], v[182:183]
	v_add_f64 v[2:3], v[30:31], -v[2:3]
	v_fma_f64 v[20:21], v[32:33], 2.0, -v[16:17]
	v_fma_f64 v[22:23], v[34:35], 2.0, -v[18:19]
	v_fmac_f64_e32 v[26:27], s[24:25], v[58:59]
	v_add_f64 v[32:33], v[202:203], -v[190:191]
	v_add_f64 v[34:35], v[204:205], v[188:189]
	v_fma_f64 v[188:189], s[16:17], v[192:193], v[200:201]
	v_fma_f64 v[190:191], s[16:17], v[194:195], v[210:211]
	v_add_f64 v[0:1], v[28:29], -v[0:1]
	v_fma_f64 v[6:7], v[30:31], 2.0, -v[2:3]
	v_fmac_f64_e32 v[8:9], s[18:19], v[14:15]
	v_fma_f64 v[24:25], s[18:19], v[58:59], v[184:185]
	v_fma_f64 v[30:31], v[182:183], 2.0, -v[26:27]
	v_fma_f64 v[180:181], s[22:23], v[216:217], v[206:207]
	v_fma_f64 v[182:183], s[22:23], v[218:219], v[208:209]
	v_fmac_f64_e32 v[188:189], s[6:7], v[194:195]
	v_fmac_f64_e32 v[190:191], s[16:17], v[192:193]
	v_fma_f64 v[228:229], s[24:25], v[198:199], v[212:213]
	v_fma_f64 v[230:231], s[24:25], v[220:221], v[214:215]
	v_fma_f64 v[4:5], v[28:29], 2.0, -v[0:1]
	v_fma_f64 v[12:13], v[52:53], 2.0, -v[8:9]
	v_fma_f64 v[14:15], v[54:55], 2.0, -v[10:11]
	v_fmac_f64_e32 v[24:25], s[20:21], v[56:57]
	v_fmac_f64_e32 v[180:181], s[20:21], v[218:219]
	;; [unrolled: 1-line block ×3, first 2 shown]
	v_fma_f64 v[192:193], v[200:201], 2.0, -v[188:189]
	v_fma_f64 v[194:195], v[210:211], 2.0, -v[190:191]
	v_fmac_f64_e32 v[228:229], s[18:19], v[220:221]
	v_fmac_f64_e32 v[230:231], s[22:23], v[198:199]
	v_lshlrev_b32_e32 v56, 4, v39
	v_fma_f64 v[28:29], v[184:185], 2.0, -v[24:25]
	v_fma_f64 v[52:53], v[202:203], 2.0, -v[32:33]
	;; [unrolled: 1-line block ×7, first 2 shown]
	ds_write_b128 v56, v[4:7]
	ds_write_b128 v56, v[12:15] offset:288
	ds_write_b128 v56, v[20:23] offset:576
	;; [unrolled: 1-line block ×15, first 2 shown]
	s_waitcnt lgkmcnt(0)
	; wave barrier
	s_waitcnt lgkmcnt(0)
	ds_read_b128 v[0:3], v44
	ds_read_b128 v[24:27], v44 offset:4608
	ds_read_b128 v[20:23], v44 offset:9216
	ds_read_b128 v[252:255], v44 offset:864
	ds_read_b128 v[16:19], v44 offset:5472
	ds_read_b128 v[204:207], v44 offset:10080
	ds_read_b128 v[248:251], v44 offset:1728
	ds_read_b128 v[12:15], v44 offset:6336
	ds_read_b128 v[8:11], v44 offset:10944
	ds_read_b128 v[244:247], v44 offset:2592
	ds_read_b128 v[4:7], v44 offset:7200
	ds_read_b128 v[220:223], v44 offset:11808
	ds_read_b128 v[240:243], v44 offset:3456
	ds_read_b128 v[192:195], v44 offset:8064
	ds_read_b128 v[188:191], v44 offset:12672
	s_and_saveexec_b64 s[6:7], s[4:5]
	s_cbranch_execz .LBB0_13
; %bb.12:
	ds_read_b128 v[228:231], v44 offset:4320
	ds_read_b128 v[232:235], v44 offset:8928
	;; [unrolled: 1-line block ×3, first 2 shown]
.LBB0_13:
	s_or_b64 exec, exec, s[6:7]
	v_accvgpr_read_b32 v47, a21
	v_accvgpr_read_b32 v46, a20
	v_lshlrev_b32_e32 v28, 5, v46
	v_mov_b32_e32 v29, 0
	v_lshl_add_u64 v[30:31], s[0:1], 0, v[28:29]
	s_mov_b64 s[6:7], 0x11d0
	s_movk_i32 s16, 0x1000
	v_lshl_add_u64 v[32:33], v[30:31], 0, s[6:7]
	v_add_co_u32_e32 v30, vcc, s16, v30
	v_lshlrev_b32_e32 v28, 5, v196
	s_nop 0
	v_addc_co_u32_e32 v31, vcc, 0, v31, vcc
	global_load_dwordx4 v[180:183], v[30:31], off offset:464
	global_load_dwordx4 v[184:187], v[32:33], off offset:16
	s_movk_i32 s18, 0xffee
	s_mov_b32 s19, -1
	v_lshl_add_u64 v[58:59], v[46:47], 0, s[18:19]
	v_cndmask_b32_e64 v37, v59, v37, s[4:5]
	v_cndmask_b32_e64 v36, v58, v36, s[4:5]
	v_lshlrev_b64 v[36:37], 5, v[36:37]
	v_lshl_add_u64 v[36:37], s[0:1], 0, v[36:37]
	v_lshl_add_u64 v[58:59], v[36:37], 0, s[6:7]
	s_waitcnt vmcnt(1) lgkmcnt(13)
	v_mul_f64 v[30:31], v[26:27], v[182:183]
	v_fma_f64 v[30:31], v[24:25], v[180:181], -v[30:31]
	v_mul_f64 v[24:25], v[24:25], v[182:183]
	v_fmac_f64_e32 v[24:25], v[26:27], v[180:181]
	s_waitcnt vmcnt(0) lgkmcnt(12)
	v_mul_f64 v[26:27], v[22:23], v[186:187]
	v_fma_f64 v[26:27], v[20:21], v[184:185], -v[26:27]
	v_mul_f64 v[20:21], v[20:21], v[186:187]
	v_fmac_f64_e32 v[20:21], v[22:23], v[184:185]
	v_lshl_add_u64 v[22:23], s[0:1], 0, v[28:29]
	v_lshl_add_u64 v[32:33], v[22:23], 0, s[6:7]
	v_add_co_u32_e32 v22, vcc, s16, v22
	v_lshlrev_b32_e32 v28, 5, v42
	s_nop 0
	v_addc_co_u32_e32 v23, vcc, 0, v23, vcc
	global_load_dwordx4 v[196:199], v[22:23], off offset:464
	global_load_dwordx4 v[200:203], v[32:33], off offset:16
	v_lshl_add_u64 v[34:35], s[0:1], 0, v[28:29]
	v_lshl_add_u64 v[42:43], v[34:35], 0, s[6:7]
	v_add_co_u32_e32 v34, vcc, s16, v34
	v_lshlrev_b32_e32 v28, 5, v40
	s_nop 0
	v_addc_co_u32_e32 v35, vcc, 0, v35, vcc
	s_waitcnt vmcnt(1) lgkmcnt(10)
	v_mul_f64 v[22:23], v[18:19], v[198:199]
	v_fma_f64 v[22:23], v[16:17], v[196:197], -v[22:23]
	v_mul_f64 v[16:17], v[16:17], v[198:199]
	v_fmac_f64_e32 v[16:17], v[18:19], v[196:197]
	s_waitcnt vmcnt(0) lgkmcnt(9)
	v_mul_f64 v[18:19], v[206:207], v[202:203]
	v_mul_f64 v[32:33], v[204:205], v[202:203]
	v_fma_f64 v[18:19], v[204:205], v[200:201], -v[18:19]
	v_fmac_f64_e32 v[32:33], v[206:207], v[200:201]
	global_load_dwordx4 v[204:207], v[34:35], off offset:464
	global_load_dwordx4 v[208:211], v[42:43], off offset:16
	s_waitcnt vmcnt(1) lgkmcnt(7)
	v_mul_f64 v[34:35], v[14:15], v[206:207]
	v_fma_f64 v[34:35], v[12:13], v[204:205], -v[34:35]
	v_mul_f64 v[12:13], v[12:13], v[206:207]
	v_fmac_f64_e32 v[12:13], v[14:15], v[204:205]
	s_waitcnt vmcnt(0) lgkmcnt(6)
	v_mul_f64 v[14:15], v[10:11], v[210:211]
	v_fma_f64 v[14:15], v[8:9], v[208:209], -v[14:15]
	v_mul_f64 v[8:9], v[8:9], v[210:211]
	v_fmac_f64_e32 v[8:9], v[10:11], v[208:209]
	v_lshl_add_u64 v[10:11], s[0:1], 0, v[28:29]
	v_lshl_add_u64 v[40:41], v[10:11], 0, s[6:7]
	v_add_co_u32_e32 v10, vcc, s16, v10
	v_lshlrev_b32_e32 v28, 5, v38
	s_nop 0
	v_addc_co_u32_e32 v11, vcc, 0, v11, vcc
	global_load_dwordx4 v[212:215], v[10:11], off offset:464
	global_load_dwordx4 v[216:219], v[40:41], off offset:16
	v_lshl_add_u64 v[38:39], s[0:1], 0, v[28:29]
	v_lshl_add_u64 v[42:43], v[38:39], 0, s[6:7]
	v_add_co_u32_e32 v38, vcc, s16, v38
	s_mov_b32 s0, 0xe8584caa
	s_nop 0
	v_addc_co_u32_e32 v39, vcc, 0, v39, vcc
	v_add_co_u32_e32 v36, vcc, s16, v36
	s_mov_b32 s1, 0x3febb67a
	s_nop 0
	v_addc_co_u32_e32 v37, vcc, 0, v37, vcc
	s_mov_b32 s7, 0xbfebb67a
	s_mov_b32 s6, s0
	s_waitcnt vmcnt(1) lgkmcnt(4)
	v_mul_f64 v[10:11], v[6:7], v[214:215]
	v_fma_f64 v[10:11], v[4:5], v[212:213], -v[10:11]
	v_mul_f64 v[4:5], v[4:5], v[214:215]
	v_fmac_f64_e32 v[4:5], v[6:7], v[212:213]
	s_waitcnt vmcnt(0) lgkmcnt(3)
	v_mul_f64 v[6:7], v[222:223], v[218:219]
	v_mul_f64 v[40:41], v[220:221], v[218:219]
	v_fma_f64 v[6:7], v[220:221], v[216:217], -v[6:7]
	v_fmac_f64_e32 v[40:41], v[222:223], v[216:217]
	global_load_dwordx4 v[220:223], v[38:39], off offset:464
	global_load_dwordx4 v[224:227], v[42:43], off offset:16
	s_waitcnt vmcnt(1) lgkmcnt(1)
	v_mul_f64 v[38:39], v[194:195], v[222:223]
	s_waitcnt vmcnt(0) lgkmcnt(0)
	v_mul_f64 v[52:53], v[190:191], v[226:227]
	v_mul_f64 v[54:55], v[188:189], v[226:227]
	v_fma_f64 v[52:53], v[188:189], v[224:225], -v[52:53]
	v_fmac_f64_e32 v[54:55], v[190:191], v[224:225]
	global_load_dwordx4 v[48:51], v[36:37], off offset:464
	global_load_dwordx4 v[188:191], v[58:59], off offset:16
	v_fma_f64 v[38:39], v[192:193], v[220:221], -v[38:39]
	v_mul_f64 v[42:43], v[192:193], v[222:223]
	v_fmac_f64_e32 v[42:43], v[194:195], v[220:221]
	s_waitcnt vmcnt(1)
	v_mul_f64 v[36:37], v[234:235], v[50:51]
	v_fma_f64 v[58:59], v[232:233], v[48:49], -v[36:37]
	v_mul_f64 v[46:47], v[232:233], v[50:51]
	v_accvgpr_write_b32 a79, v51
	s_waitcnt vmcnt(0)
	v_mul_f64 v[36:37], v[238:239], v[190:191]
	v_accvgpr_write_b32 a78, v50
	v_accvgpr_write_b32 a77, v49
	;; [unrolled: 1-line block ×3, first 2 shown]
	v_fmac_f64_e32 v[46:47], v[234:235], v[48:49]
	v_fma_f64 v[50:51], v[236:237], v[188:189], -v[36:37]
	v_mul_f64 v[48:49], v[236:237], v[190:191]
	v_accvgpr_write_b32 a80, v188
	v_add_f64 v[36:37], v[0:1], v[30:31]
	v_accvgpr_write_b32 a81, v189
	v_accvgpr_write_b32 a82, v190
	;; [unrolled: 1-line block ×3, first 2 shown]
	v_fmac_f64_e32 v[48:49], v[238:239], v[188:189]
	v_add_f64 v[188:189], v[36:37], v[26:27]
	v_add_f64 v[36:37], v[30:31], v[26:27]
	v_fmac_f64_e32 v[0:1], -0.5, v[36:37]
	v_add_f64 v[36:37], v[24:25], -v[20:21]
	v_fma_f64 v[192:193], s[0:1], v[36:37], v[0:1]
	v_fmac_f64_e32 v[0:1], s[6:7], v[36:37]
	v_add_f64 v[36:37], v[2:3], v[24:25]
	v_add_f64 v[190:191], v[36:37], v[20:21]
	v_add_f64 v[20:21], v[24:25], v[20:21]
	v_fmac_f64_e32 v[2:3], -0.5, v[20:21]
	v_add_f64 v[20:21], v[30:31], -v[26:27]
	v_fma_f64 v[194:195], s[6:7], v[20:21], v[2:3]
	v_fmac_f64_e32 v[2:3], s[0:1], v[20:21]
	v_add_f64 v[20:21], v[252:253], v[22:23]
	;; [unrolled: 7-line block ×3, first 2 shown]
	v_add_f64 v[16:17], v[16:17], v[32:33]
	v_fmac_f64_e32 v[254:255], -0.5, v[16:17]
	v_add_f64 v[16:17], v[22:23], -v[18:19]
	v_add_f64 v[18:19], v[34:35], v[14:15]
	v_fma_f64 v[22:23], s[6:7], v[16:17], v[254:255]
	v_fmac_f64_e32 v[254:255], s[0:1], v[16:17]
	v_add_f64 v[16:17], v[248:249], v[34:35]
	v_fmac_f64_e32 v[248:249], -0.5, v[18:19]
	v_add_f64 v[18:19], v[12:13], -v[8:9]
	v_fma_f64 v[30:31], s[0:1], v[18:19], v[248:249]
	v_fmac_f64_e32 v[248:249], s[6:7], v[18:19]
	v_add_f64 v[18:19], v[250:251], v[12:13]
	v_add_f64 v[18:19], v[18:19], v[8:9]
	;; [unrolled: 1-line block ×3, first 2 shown]
	v_fmac_f64_e32 v[250:251], -0.5, v[8:9]
	v_add_f64 v[8:9], v[34:35], -v[14:15]
	v_add_f64 v[26:27], v[26:27], v[32:33]
	v_fma_f64 v[32:33], s[6:7], v[8:9], v[250:251]
	v_fmac_f64_e32 v[250:251], s[0:1], v[8:9]
	v_add_f64 v[8:9], v[244:245], v[10:11]
	v_add_f64 v[12:13], v[8:9], v[6:7]
	;; [unrolled: 1-line block ×4, first 2 shown]
	v_fmac_f64_e32 v[244:245], -0.5, v[8:9]
	v_add_f64 v[14:15], v[4:5], -v[40:41]
	v_fma_f64 v[8:9], s[0:1], v[14:15], v[244:245]
	v_fmac_f64_e32 v[244:245], s[6:7], v[14:15]
	v_add_f64 v[14:15], v[246:247], v[4:5]
	v_add_f64 v[4:5], v[4:5], v[40:41]
	v_fmac_f64_e32 v[246:247], -0.5, v[4:5]
	v_add_f64 v[4:5], v[10:11], -v[6:7]
	v_add_f64 v[6:7], v[38:39], v[52:53]
	v_fma_f64 v[10:11], s[6:7], v[4:5], v[246:247]
	v_fmac_f64_e32 v[246:247], s[0:1], v[4:5]
	v_add_f64 v[4:5], v[240:241], v[38:39]
	v_fmac_f64_e32 v[240:241], -0.5, v[6:7]
	v_add_f64 v[6:7], v[42:43], -v[54:55]
	v_add_f64 v[36:37], v[42:43], v[54:55]
	v_fma_f64 v[34:35], s[0:1], v[6:7], v[240:241]
	v_fmac_f64_e32 v[240:241], s[6:7], v[6:7]
	v_add_f64 v[6:7], v[242:243], v[42:43]
	v_fmac_f64_e32 v[242:243], -0.5, v[36:37]
	v_add_f64 v[38:39], v[38:39], -v[52:53]
	v_fma_f64 v[36:37], s[6:7], v[38:39], v[242:243]
	v_fmac_f64_e32 v[242:243], s[0:1], v[38:39]
	v_add_f64 v[38:39], v[228:229], v[58:59]
	v_add_f64 v[232:233], v[38:39], v[50:51]
	v_add_f64 v[38:39], v[58:59], v[50:51]
	v_fmac_f64_e32 v[228:229], -0.5, v[38:39]
	v_add_f64 v[38:39], v[46:47], -v[48:49]
	v_fma_f64 v[236:237], s[0:1], v[38:39], v[228:229]
	v_fmac_f64_e32 v[228:229], s[6:7], v[38:39]
	v_add_f64 v[38:39], v[230:231], v[46:47]
	v_add_f64 v[234:235], v[38:39], v[48:49]
	;; [unrolled: 7-line block ×3, first 2 shown]
	v_add_f64 v[6:7], v[6:7], v[54:55]
	ds_write_b128 v44, v[188:191]
	ds_write_b128 v44, v[192:195] offset:4608
	ds_write_b128 v44, v[0:3] offset:9216
	;; [unrolled: 1-line block ×14, first 2 shown]
	s_and_saveexec_b64 s[0:1], s[4:5]
	s_cbranch_execz .LBB0_15
; %bb.14:
	ds_write_b128 v44, v[232:235] offset:4320
	ds_write_b128 v44, v[236:239] offset:8928
	;; [unrolled: 1-line block ×3, first 2 shown]
.LBB0_15:
	s_or_b64 exec, exec, s[0:1]
	s_add_u32 s0, s14, 0x3600
	v_accvgpr_read_b32 v192, a20
	s_addc_u32 s1, s15, 0
	v_lshlrev_b32_e32 v28, 4, v192
	s_waitcnt lgkmcnt(0)
	; wave barrier
	s_waitcnt lgkmcnt(0)
	global_load_dwordx4 v[6:9], v28, s[0:1]
	ds_read_b128 v[0:3], v44
	v_lshl_add_u64 v[4:5], s[0:1], 0, v[28:29]
	s_movk_i32 s6, 0x2000
	s_waitcnt vmcnt(0) lgkmcnt(0)
	v_mul_f64 v[10:11], v[2:3], v[8:9]
	v_fma_f64 v[10:11], v[0:1], v[6:7], -v[10:11]
	v_mul_f64 v[12:13], v[0:1], v[8:9]
	v_add_co_u32_e32 v0, vcc, s16, v4
	v_fmac_f64_e32 v[12:13], v[2:3], v[6:7]
	s_nop 0
	v_addc_co_u32_e32 v1, vcc, 0, v5, vcc
	ds_write_b128 v44, v[10:13]
	global_load_dwordx4 v[10:13], v[0:1], off offset:512
	ds_read_b128 v[6:9], v44 offset:4608
	s_waitcnt vmcnt(0) lgkmcnt(0)
	v_mul_f64 v[2:3], v[8:9], v[12:13]
	v_fma_f64 v[14:15], v[6:7], v[10:11], -v[2:3]
	v_mul_f64 v[16:17], v[6:7], v[12:13]
	v_accvgpr_read_b32 v2, a75
	v_fmac_f64_e32 v[16:17], v[8:9], v[10:11]
	global_load_dwordx4 v[10:13], v2, s[0:1]
	ds_read_b128 v[6:9], v44 offset:9216
	ds_write_b128 v44, v[14:17] offset:4608
	s_waitcnt vmcnt(0) lgkmcnt(1)
	v_mul_f64 v[2:3], v[8:9], v[12:13]
	v_mul_f64 v[16:17], v[6:7], v[12:13]
	v_fma_f64 v[14:15], v[6:7], v[10:11], -v[2:3]
	v_fmac_f64_e32 v[16:17], v[8:9], v[10:11]
	global_load_dwordx4 v[10:13], v28, s[0:1] offset:864
	ds_read_b128 v[6:9], v44 offset:864
	ds_write_b128 v44, v[14:17] offset:9216
	s_waitcnt vmcnt(0) lgkmcnt(1)
	v_mul_f64 v[2:3], v[8:9], v[12:13]
	v_mul_f64 v[16:17], v[6:7], v[12:13]
	v_fma_f64 v[14:15], v[6:7], v[10:11], -v[2:3]
	v_fmac_f64_e32 v[16:17], v[8:9], v[10:11]
	global_load_dwordx4 v[10:13], v[0:1], off offset:1376
	ds_read_b128 v[6:9], v44 offset:5472
	ds_write_b128 v44, v[14:17] offset:864
	s_waitcnt vmcnt(0) lgkmcnt(1)
	v_mul_f64 v[2:3], v[8:9], v[12:13]
	v_fma_f64 v[14:15], v[6:7], v[10:11], -v[2:3]
	v_mul_f64 v[16:17], v[6:7], v[12:13]
	v_add_co_u32_e32 v6, vcc, s6, v4
	v_fmac_f64_e32 v[16:17], v[8:9], v[10:11]
	s_nop 0
	v_addc_co_u32_e32 v7, vcc, 0, v5, vcc
	ds_write_b128 v44, v[14:17] offset:5472
	global_load_dwordx4 v[12:15], v[6:7], off offset:1888
	ds_read_b128 v[8:11], v44 offset:10080
	s_waitcnt vmcnt(0) lgkmcnt(0)
	v_mul_f64 v[2:3], v[10:11], v[14:15]
	v_mul_f64 v[18:19], v[8:9], v[14:15]
	v_fma_f64 v[16:17], v[8:9], v[12:13], -v[2:3]
	v_fmac_f64_e32 v[18:19], v[10:11], v[12:13]
	global_load_dwordx4 v[12:15], v28, s[0:1] offset:1728
	ds_read_b128 v[8:11], v44 offset:1728
	ds_write_b128 v44, v[16:19] offset:10080
	s_waitcnt vmcnt(0) lgkmcnt(1)
	v_mul_f64 v[2:3], v[10:11], v[14:15]
	v_mul_f64 v[18:19], v[8:9], v[14:15]
	v_fma_f64 v[16:17], v[8:9], v[12:13], -v[2:3]
	v_fmac_f64_e32 v[18:19], v[10:11], v[12:13]
	global_load_dwordx4 v[12:15], v[0:1], off offset:2240
	ds_read_b128 v[8:11], v44 offset:6336
	ds_write_b128 v44, v[16:19] offset:1728
	s_waitcnt vmcnt(0) lgkmcnt(1)
	v_mul_f64 v[2:3], v[10:11], v[14:15]
	v_mul_f64 v[18:19], v[8:9], v[14:15]
	v_fma_f64 v[16:17], v[8:9], v[12:13], -v[2:3]
	v_fmac_f64_e32 v[18:19], v[10:11], v[12:13]
	global_load_dwordx4 v[12:15], v[6:7], off offset:2752
	ds_read_b128 v[8:11], v44 offset:10944
	ds_write_b128 v44, v[16:19] offset:6336
	s_waitcnt vmcnt(0) lgkmcnt(1)
	v_mul_f64 v[2:3], v[10:11], v[14:15]
	v_mul_f64 v[18:19], v[8:9], v[14:15]
	v_fma_f64 v[16:17], v[8:9], v[12:13], -v[2:3]
	v_fmac_f64_e32 v[18:19], v[10:11], v[12:13]
	global_load_dwordx4 v[12:15], v28, s[0:1] offset:2592
	ds_read_b128 v[8:11], v44 offset:2592
	ds_write_b128 v44, v[16:19] offset:10944
	s_waitcnt vmcnt(0) lgkmcnt(1)
	v_mul_f64 v[2:3], v[10:11], v[14:15]
	v_mul_f64 v[18:19], v[8:9], v[14:15]
	v_fma_f64 v[16:17], v[8:9], v[12:13], -v[2:3]
	v_fmac_f64_e32 v[18:19], v[10:11], v[12:13]
	global_load_dwordx4 v[12:15], v[0:1], off offset:3104
	ds_read_b128 v[8:11], v44 offset:7200
	ds_write_b128 v44, v[16:19] offset:2592
	s_waitcnt vmcnt(0) lgkmcnt(1)
	v_mul_f64 v[2:3], v[10:11], v[14:15]
	v_mul_f64 v[18:19], v[8:9], v[14:15]
	v_fma_f64 v[16:17], v[8:9], v[12:13], -v[2:3]
	v_fmac_f64_e32 v[18:19], v[10:11], v[12:13]
	global_load_dwordx4 v[12:15], v[6:7], off offset:3616
	ds_read_b128 v[8:11], v44 offset:11808
	ds_write_b128 v44, v[16:19] offset:7200
	s_waitcnt vmcnt(0) lgkmcnt(1)
	v_mul_f64 v[2:3], v[10:11], v[14:15]
	v_mul_f64 v[18:19], v[8:9], v[14:15]
	v_fma_f64 v[16:17], v[8:9], v[12:13], -v[2:3]
	v_fmac_f64_e32 v[18:19], v[10:11], v[12:13]
	global_load_dwordx4 v[12:15], v28, s[0:1] offset:3456
	ds_read_b128 v[8:11], v44 offset:3456
	ds_write_b128 v44, v[16:19] offset:11808
	s_movk_i32 s0, 0x3000
	s_waitcnt vmcnt(0) lgkmcnt(1)
	v_mul_f64 v[2:3], v[10:11], v[14:15]
	v_fma_f64 v[16:17], v[8:9], v[12:13], -v[2:3]
	global_load_dwordx4 v[0:3], v[0:1], off offset:3968
	v_mul_f64 v[18:19], v[8:9], v[14:15]
	v_fmac_f64_e32 v[18:19], v[10:11], v[12:13]
	ds_read_b128 v[8:11], v44 offset:8064
	ds_write_b128 v44, v[16:19] offset:3456
	s_waitcnt vmcnt(0) lgkmcnt(1)
	v_mul_f64 v[12:13], v[10:11], v[2:3]
	v_fma_f64 v[12:13], v[8:9], v[0:1], -v[12:13]
	v_mul_f64 v[14:15], v[8:9], v[2:3]
	v_add_co_u32_e32 v8, vcc, s0, v4
	v_fmac_f64_e32 v[14:15], v[10:11], v[0:1]
	s_nop 0
	v_addc_co_u32_e32 v9, vcc, 0, v5, vcc
	ds_write_b128 v44, v[12:15] offset:8064
	global_load_dwordx4 v[10:13], v[8:9], off offset:384
	ds_read_b128 v[0:3], v44 offset:12672
	s_waitcnt vmcnt(0) lgkmcnt(0)
	v_mul_f64 v[14:15], v[2:3], v[12:13]
	v_mul_f64 v[16:17], v[0:1], v[12:13]
	v_fma_f64 v[14:15], v[0:1], v[10:11], -v[14:15]
	v_fmac_f64_e32 v[16:17], v[2:3], v[10:11]
	ds_write_b128 v44, v[14:17] offset:12672
	s_and_saveexec_b64 s[0:1], s[4:5]
	s_cbranch_execz .LBB0_17
; %bb.16:
	v_add_co_u32_e32 v4, vcc, 0x1000, v4
	ds_read_b128 v[0:3], v44 offset:4320
	s_nop 0
	v_addc_co_u32_e32 v5, vcc, 0, v5, vcc
	global_load_dwordx4 v[10:13], v[4:5], off offset:224
	s_waitcnt vmcnt(0) lgkmcnt(0)
	v_mul_f64 v[4:5], v[2:3], v[12:13]
	v_fma_f64 v[14:15], v[0:1], v[10:11], -v[4:5]
	global_load_dwordx4 v[4:7], v[6:7], off offset:736
	v_mul_f64 v[16:17], v[0:1], v[12:13]
	v_fmac_f64_e32 v[16:17], v[2:3], v[10:11]
	ds_read_b128 v[0:3], v44 offset:8928
	ds_write_b128 v44, v[14:17] offset:4320
	s_waitcnt vmcnt(0) lgkmcnt(1)
	v_mul_f64 v[10:11], v[2:3], v[6:7]
	v_mul_f64 v[12:13], v[0:1], v[6:7]
	v_fma_f64 v[10:11], v[0:1], v[4:5], -v[10:11]
	v_fmac_f64_e32 v[12:13], v[2:3], v[4:5]
	global_load_dwordx4 v[4:7], v[8:9], off offset:1248
	ds_read_b128 v[0:3], v44 offset:13536
	ds_write_b128 v44, v[10:13] offset:8928
	s_waitcnt vmcnt(0) lgkmcnt(1)
	v_mul_f64 v[8:9], v[2:3], v[6:7]
	v_mul_f64 v[10:11], v[0:1], v[6:7]
	v_fma_f64 v[8:9], v[0:1], v[4:5], -v[8:9]
	v_fmac_f64_e32 v[10:11], v[2:3], v[4:5]
	ds_write_b128 v44, v[8:11] offset:13536
.LBB0_17:
	s_or_b64 exec, exec, s[0:1]
	s_waitcnt lgkmcnt(0)
	; wave barrier
	s_waitcnt lgkmcnt(0)
	ds_read_b128 v[8:11], v44
	ds_read_b128 v[4:7], v44 offset:864
	ds_read_b128 v[36:39], v44 offset:9216
	;; [unrolled: 1-line block ×14, first 2 shown]
	s_and_saveexec_b64 s[0:1], s[4:5]
	s_cbranch_execz .LBB0_19
; %bb.18:
	ds_read_b128 v[232:235], v44 offset:4320
	ds_read_b128 v[236:239], v44 offset:8928
	ds_read_b128 v[228:231], v44 offset:13536
.LBB0_19:
	s_or_b64 exec, exec, s[0:1]
	s_waitcnt lgkmcnt(4)
	v_add_f64 v[46:47], v[8:9], v[40:41]
	v_add_f64 v[52:53], v[46:47], v[36:37]
	;; [unrolled: 1-line block ×3, first 2 shown]
	s_mov_b32 s0, 0xe8584caa
	v_fmac_f64_e32 v[8:9], -0.5, v[46:47]
	v_add_f64 v[46:47], v[42:43], -v[38:39]
	s_mov_b32 s1, 0xbfebb67a
	s_mov_b32 s7, 0x3febb67a
	;; [unrolled: 1-line block ×3, first 2 shown]
	v_fma_f64 v[188:189], s[0:1], v[46:47], v[8:9]
	v_fmac_f64_e32 v[8:9], s[6:7], v[46:47]
	v_add_f64 v[46:47], v[10:11], v[42:43]
	v_add_f64 v[54:55], v[46:47], v[38:39]
	;; [unrolled: 1-line block ×3, first 2 shown]
	v_fmac_f64_e32 v[10:11], -0.5, v[38:39]
	v_add_f64 v[36:37], v[40:41], -v[36:37]
	v_add_f64 v[38:39], v[32:33], v[28:29]
	v_fma_f64 v[190:191], s[6:7], v[36:37], v[10:11]
	v_fmac_f64_e32 v[10:11], s[0:1], v[36:37]
	v_add_f64 v[36:37], v[4:5], v[32:33]
	v_fmac_f64_e32 v[4:5], -0.5, v[38:39]
	v_add_f64 v[38:39], v[34:35], -v[30:31]
	v_fma_f64 v[40:41], s[0:1], v[38:39], v[4:5]
	v_fmac_f64_e32 v[4:5], s[6:7], v[38:39]
	v_add_f64 v[38:39], v[6:7], v[34:35]
	v_add_f64 v[38:39], v[38:39], v[30:31]
	v_add_f64 v[30:31], v[34:35], v[30:31]
	v_add_f64 v[36:37], v[36:37], v[28:29]
	v_fmac_f64_e32 v[6:7], -0.5, v[30:31]
	v_add_f64 v[28:29], v[32:33], -v[28:29]
	v_add_f64 v[30:31], v[20:21], v[24:25]
	v_fma_f64 v[42:43], s[6:7], v[28:29], v[6:7]
	v_fmac_f64_e32 v[6:7], s[0:1], v[28:29]
	v_add_f64 v[28:29], v[252:253], v[20:21]
	v_fmac_f64_e32 v[252:253], -0.5, v[30:31]
	v_add_f64 v[30:31], v[22:23], -v[26:27]
	v_fma_f64 v[32:33], s[0:1], v[30:31], v[252:253]
	v_fmac_f64_e32 v[252:253], s[6:7], v[30:31]
	v_add_f64 v[30:31], v[254:255], v[22:23]
	v_add_f64 v[22:23], v[22:23], v[26:27]
	v_fmac_f64_e32 v[254:255], -0.5, v[22:23]
	v_add_f64 v[20:21], v[20:21], -v[24:25]
	s_waitcnt lgkmcnt(2)
	v_add_f64 v[22:23], v[248:249], v[0:1]
	v_fma_f64 v[34:35], s[6:7], v[20:21], v[254:255]
	v_fmac_f64_e32 v[254:255], s[0:1], v[20:21]
	v_add_f64 v[20:21], v[244:245], v[248:249]
	v_fmac_f64_e32 v[244:245], -0.5, v[22:23]
	v_add_f64 v[22:23], v[250:251], -v[2:3]
	v_add_f64 v[28:29], v[28:29], v[24:25]
	v_fma_f64 v[24:25], s[0:1], v[22:23], v[244:245]
	v_fmac_f64_e32 v[244:245], s[6:7], v[22:23]
	v_add_f64 v[22:23], v[246:247], v[250:251]
	v_add_f64 v[22:23], v[22:23], v[2:3]
	;; [unrolled: 1-line block ×4, first 2 shown]
	v_fmac_f64_e32 v[246:247], -0.5, v[2:3]
	v_add_f64 v[0:1], v[248:249], -v[0:1]
	s_waitcnt lgkmcnt(0)
	v_add_f64 v[2:3], v[12:13], v[16:17]
	v_add_f64 v[30:31], v[30:31], v[26:27]
	v_fma_f64 v[26:27], s[6:7], v[0:1], v[246:247]
	v_fmac_f64_e32 v[246:247], s[0:1], v[0:1]
	v_add_f64 v[0:1], v[240:241], v[12:13]
	v_fmac_f64_e32 v[240:241], -0.5, v[2:3]
	v_add_f64 v[2:3], v[14:15], -v[18:19]
	v_fma_f64 v[248:249], s[0:1], v[2:3], v[240:241]
	v_fmac_f64_e32 v[240:241], s[6:7], v[2:3]
	v_add_f64 v[2:3], v[242:243], v[14:15]
	v_add_f64 v[14:15], v[14:15], v[18:19]
	v_fmac_f64_e32 v[242:243], -0.5, v[14:15]
	v_add_f64 v[12:13], v[12:13], -v[16:17]
	v_add_f64 v[14:15], v[236:237], v[228:229]
	v_add_f64 v[2:3], v[2:3], v[18:19]
	v_fma_f64 v[250:251], s[6:7], v[12:13], v[242:243]
	v_fmac_f64_e32 v[242:243], s[0:1], v[12:13]
	v_add_f64 v[12:13], v[232:233], v[236:237]
	v_fmac_f64_e32 v[232:233], -0.5, v[14:15]
	v_add_f64 v[14:15], v[238:239], -v[230:231]
	v_add_f64 v[18:19], v[238:239], v[230:231]
	v_add_f64 v[0:1], v[0:1], v[16:17]
	v_fma_f64 v[16:17], s[0:1], v[14:15], v[232:233]
	v_fmac_f64_e32 v[232:233], s[6:7], v[14:15]
	v_add_f64 v[14:15], v[234:235], v[238:239]
	v_fmac_f64_e32 v[234:235], -0.5, v[18:19]
	v_add_f64 v[46:47], v[236:237], -v[228:229]
	v_fma_f64 v[18:19], s[6:7], v[46:47], v[234:235]
	v_fmac_f64_e32 v[234:235], s[0:1], v[46:47]
	v_accvgpr_read_b32 v46, a63
	s_waitcnt lgkmcnt(0)
	; wave barrier
	ds_write_b128 v46, v[52:55]
	ds_write_b128 v46, v[188:191] offset:16
	ds_write_b128 v46, v[8:11] offset:32
	v_accvgpr_read_b32 v8, a68
	ds_write_b128 v8, v[36:39]
	ds_write_b128 v8, v[40:43] offset:16
	ds_write_b128 v8, v[4:7] offset:32
	v_accvgpr_read_b32 v4, a69
	;; [unrolled: 4-line block ×3, first 2 shown]
	v_add_f64 v[12:13], v[12:13], v[228:229]
	v_add_f64 v[14:15], v[14:15], v[230:231]
	ds_write_b128 v4, v[20:23]
	ds_write_b128 v4, v[24:27] offset:16
	ds_write_b128 v4, v[244:247] offset:32
	v_accvgpr_read_b32 v4, a71
	ds_write_b128 v4, v[0:3]
	ds_write_b128 v4, v[248:251] offset:16
	ds_write_b128 v4, v[240:243] offset:32
	s_and_saveexec_b64 s[0:1], s[4:5]
	s_cbranch_execz .LBB0_21
; %bb.20:
	v_accvgpr_read_b32 v4, a72
	v_lshlrev_b32_e32 v4, 4, v4
	ds_write_b128 v4, v[12:15]
	ds_write_b128 v4, v[16:19] offset:16
	ds_write_b128 v4, v[232:235] offset:32
.LBB0_21:
	s_or_b64 exec, exec, s[0:1]
	s_waitcnt lgkmcnt(0)
	; wave barrier
	s_waitcnt lgkmcnt(0)
	ds_read_b128 v[4:7], v44
	ds_read_b128 v[228:231], v44 offset:864
	ds_read_b128 v[40:43], v44 offset:2304
	ds_read_b128 v[32:35], v44 offset:3168
	ds_read_b128 v[252:255], v44 offset:4608
	ds_read_b128 v[28:31], v44 offset:5472
	ds_read_b128 v[36:39], v44 offset:6912
	ds_read_b128 v[24:27], v44 offset:7776
	ds_read_b128 v[244:247], v44 offset:9216
	ds_read_b128 v[20:23], v44 offset:10080
	ds_read_b128 v[236:239], v44 offset:11520
	ds_read_b128 v[8:11], v44 offset:12384
	s_and_saveexec_b64 s[0:1], s[2:3]
	s_cbranch_execz .LBB0_23
; %bb.22:
	ds_read_b128 v[0:3], v44 offset:1728
	ds_read_b128 v[248:251], v44 offset:4032
	ds_read_b128 v[240:243], v44 offset:6336
	ds_read_b128 v[12:15], v44 offset:8640
	ds_read_b128 v[16:19], v44 offset:10944
	ds_read_b128 v[232:235], v44 offset:13248
.LBB0_23:
	s_or_b64 exec, exec, s[0:1]
	s_waitcnt lgkmcnt(9)
	v_mul_f64 v[46:47], v[74:75], v[42:43]
	v_fmac_f64_e32 v[46:47], v[72:73], v[40:41]
	v_mul_f64 v[40:41], v[74:75], v[40:41]
	s_waitcnt lgkmcnt(5)
	v_mul_f64 v[50:51], v[66:67], v[38:39]
	v_fma_f64 v[48:49], v[72:73], v[42:43], -v[40:41]
	v_mul_f64 v[40:41], v[70:71], v[254:255]
	v_fmac_f64_e32 v[50:51], v[64:65], v[36:37]
	v_mul_f64 v[36:37], v[66:67], v[36:37]
	v_fmac_f64_e32 v[40:41], v[68:69], v[252:253]
	v_mul_f64 v[42:43], v[70:71], v[252:253]
	v_fma_f64 v[36:37], v[64:65], v[38:39], -v[36:37]
	s_waitcnt lgkmcnt(3)
	v_mul_f64 v[38:39], v[62:63], v[246:247]
	v_mul_f64 v[52:53], v[62:63], v[244:245]
	v_fma_f64 v[42:43], v[68:69], v[254:255], -v[42:43]
	v_fmac_f64_e32 v[38:39], v[60:61], v[244:245]
	v_fma_f64 v[52:53], v[60:61], v[246:247], -v[52:53]
	v_mul_f64 v[60:61], v[90:91], v[34:35]
	v_add_f64 v[68:69], v[4:5], v[40:41]
	v_fmac_f64_e32 v[60:61], v[88:89], v[32:33]
	v_mul_f64 v[32:33], v[90:91], v[32:33]
	v_add_f64 v[72:73], v[68:69], v[38:39]
	v_add_f64 v[68:69], v[40:41], v[38:39]
	s_mov_b32 s6, 0xe8584caa
	s_waitcnt lgkmcnt(1)
	v_mul_f64 v[54:55], v[78:79], v[238:239]
	v_fma_f64 v[32:33], v[88:89], v[34:35], -v[32:33]
	v_mul_f64 v[34:35], v[86:87], v[30:31]
	v_fmac_f64_e32 v[4:5], -0.5, v[68:69]
	v_add_f64 v[68:69], v[42:43], -v[52:53]
	s_mov_b32 s7, 0xbfebb67a
	s_mov_b32 s1, 0x3febb67a
	;; [unrolled: 1-line block ×3, first 2 shown]
	v_fmac_f64_e32 v[54:55], v[76:77], v[236:237]
	v_mul_f64 v[58:59], v[78:79], v[236:237]
	v_fmac_f64_e32 v[34:35], v[84:85], v[28:29]
	v_mul_f64 v[28:29], v[86:87], v[28:29]
	v_fma_f64 v[74:75], s[6:7], v[68:69], v[4:5]
	v_fmac_f64_e32 v[4:5], s[0:1], v[68:69]
	v_add_f64 v[68:69], v[6:7], v[42:43]
	v_add_f64 v[42:43], v[42:43], v[52:53]
	v_fma_f64 v[58:59], v[76:77], v[238:239], -v[58:59]
	v_fma_f64 v[28:29], v[84:85], v[30:31], -v[28:29]
	v_mul_f64 v[30:31], v[82:83], v[26:27]
	v_fmac_f64_e32 v[6:7], -0.5, v[42:43]
	v_add_f64 v[38:39], v[40:41], -v[38:39]
	v_add_f64 v[40:41], v[50:51], v[54:55]
	v_fmac_f64_e32 v[30:31], v[80:81], v[24:25]
	v_mul_f64 v[24:25], v[82:83], v[24:25]
	v_fma_f64 v[82:83], s[0:1], v[38:39], v[6:7]
	v_fmac_f64_e32 v[6:7], s[6:7], v[38:39]
	v_add_f64 v[38:39], v[46:47], v[50:51]
	v_fmac_f64_e32 v[46:47], -0.5, v[40:41]
	v_add_f64 v[40:41], v[36:37], -v[58:59]
	v_fma_f64 v[70:71], s[6:7], v[40:41], v[46:47]
	v_fmac_f64_e32 v[46:47], s[0:1], v[40:41]
	v_add_f64 v[40:41], v[48:49], v[36:37]
	v_add_f64 v[36:37], v[36:37], v[58:59]
	v_fmac_f64_e32 v[48:49], -0.5, v[36:37]
	v_add_f64 v[36:37], v[50:51], -v[54:55]
	v_fma_f64 v[50:51], s[0:1], v[36:37], v[48:49]
	v_fmac_f64_e32 v[48:49], s[6:7], v[36:37]
	v_mul_f64 v[64:65], v[94:95], v[22:23]
	v_add_f64 v[88:89], v[40:41], v[58:59]
	v_mul_f64 v[36:37], v[50:51], s[6:7]
	v_mul_f64 v[58:59], v[48:49], s[6:7]
	v_mul_f64 v[50:51], v[50:51], 0.5
	v_mul_f64 v[48:49], v[48:49], -0.5
	v_fmac_f64_e32 v[64:65], v[92:93], v[20:21]
	v_mul_f64 v[20:21], v[94:95], v[20:21]
	v_add_f64 v[78:79], v[68:69], v[52:53]
	v_fmac_f64_e32 v[36:37], 0.5, v[70:71]
	v_fmac_f64_e32 v[50:51], s[0:1], v[70:71]
	v_fmac_f64_e32 v[48:49], s[0:1], v[46:47]
	v_fma_f64 v[66:67], v[92:93], v[22:23], -v[20:21]
	v_add_f64 v[38:39], v[38:39], v[54:55]
	v_add_f64 v[52:53], v[74:75], v[36:37]
	v_fmac_f64_e32 v[58:59], -0.5, v[46:47]
	v_add_f64 v[42:43], v[78:79], v[88:89]
	v_add_f64 v[54:55], v[82:83], v[50:51]
	;; [unrolled: 1-line block ×3, first 2 shown]
	v_add_f64 v[76:77], v[74:75], -v[36:37]
	v_add_f64 v[74:75], v[78:79], -v[88:89]
	;; [unrolled: 1-line block ×4, first 2 shown]
	v_add_f64 v[6:7], v[34:35], v[64:65]
	v_fma_f64 v[62:63], v[80:81], v[26:27], -v[24:25]
	s_waitcnt lgkmcnt(0)
	v_mul_f64 v[84:85], v[98:99], v[10:11]
	v_mul_f64 v[20:21], v[110:111], v[240:241]
	v_add_f64 v[68:69], v[4:5], v[58:59]
	v_add_f64 v[80:81], v[4:5], -v[58:59]
	v_add_f64 v[4:5], v[228:229], v[34:35]
	v_fmac_f64_e32 v[228:229], -0.5, v[6:7]
	v_add_f64 v[6:7], v[28:29], -v[66:67]
	v_fmac_f64_e32 v[84:85], v[96:97], v[8:9]
	v_mul_f64 v[8:9], v[98:99], v[8:9]
	v_fma_f64 v[24:25], v[108:109], v[242:243], -v[20:21]
	v_mul_f64 v[20:21], v[106:107], v[14:15]
	v_fma_f64 v[36:37], s[6:7], v[6:7], v[228:229]
	v_fmac_f64_e32 v[228:229], s[0:1], v[6:7]
	v_add_f64 v[6:7], v[230:231], v[28:29]
	v_add_f64 v[28:29], v[28:29], v[66:67]
	v_fma_f64 v[86:87], v[96:97], v[10:11], -v[8:9]
	v_mul_f64 v[10:11], v[114:115], v[248:249]
	v_fmac_f64_e32 v[20:21], v[104:105], v[12:13]
	v_mul_f64 v[12:13], v[106:107], v[12:13]
	v_add_f64 v[40:41], v[72:73], v[38:39]
	v_add_f64 v[72:73], v[72:73], -v[38:39]
	v_fmac_f64_e32 v[230:231], -0.5, v[28:29]
	v_add_f64 v[28:29], v[34:35], -v[64:65]
	v_add_f64 v[38:39], v[30:31], v[84:85]
	v_fma_f64 v[22:23], v[112:113], v[250:251], -v[10:11]
	v_mul_f64 v[10:11], v[110:111], v[242:243]
	v_fma_f64 v[26:27], v[104:105], v[14:15], -v[12:13]
	v_mul_f64 v[12:13], v[102:103], v[18:19]
	v_fma_f64 v[34:35], s[0:1], v[28:29], v[230:231]
	v_fmac_f64_e32 v[230:231], s[6:7], v[28:29]
	v_add_f64 v[28:29], v[60:61], v[30:31]
	v_fmac_f64_e32 v[60:61], -0.5, v[38:39]
	v_add_f64 v[38:39], v[62:63], -v[86:87]
	v_add_f64 v[48:49], v[62:63], v[86:87]
	v_fmac_f64_e32 v[10:11], v[108:109], v[240:241]
	v_fmac_f64_e32 v[12:13], v[100:101], v[16:17]
	v_mul_f64 v[14:15], v[102:103], v[16:17]
	v_add_f64 v[4:5], v[4:5], v[64:65]
	v_add_f64 v[28:29], v[28:29], v[84:85]
	v_fma_f64 v[46:47], s[6:7], v[38:39], v[60:61]
	v_fmac_f64_e32 v[60:61], s[0:1], v[38:39]
	v_add_f64 v[38:39], v[32:33], v[62:63]
	v_fmac_f64_e32 v[32:33], -0.5, v[48:49]
	v_add_f64 v[30:31], v[30:31], -v[84:85]
	v_fma_f64 v[16:17], v[100:101], v[18:19], -v[14:15]
	v_add_f64 v[6:7], v[6:7], v[66:67]
	v_add_f64 v[38:39], v[38:39], v[86:87]
	v_fma_f64 v[48:49], s[0:1], v[30:31], v[32:33]
	v_fmac_f64_e32 v[32:33], s[6:7], v[30:31]
	v_add_f64 v[84:85], v[4:5], v[28:29]
	v_add_f64 v[96:97], v[4:5], -v[28:29]
	v_add_f64 v[4:5], v[12:13], v[10:11]
	v_mul_f64 v[30:31], v[48:49], s[6:7]
	v_mul_f64 v[50:51], v[32:33], s[6:7]
	v_add_f64 v[86:87], v[6:7], v[38:39]
	v_mul_f64 v[32:33], v[32:33], -0.5
	v_add_f64 v[98:99], v[6:7], -v[38:39]
	v_fma_f64 v[6:7], -0.5, v[4:5], v[0:1]
	v_add_f64 v[28:29], v[24:25], -v[16:17]
	v_mul_f64 v[14:15], v[118:119], v[234:235]
	v_fmac_f64_e32 v[30:31], 0.5, v[46:47]
	v_fmac_f64_e32 v[32:33], s[0:1], v[60:61]
	v_fma_f64 v[4:5], s[6:7], v[28:29], v[6:7]
	v_fmac_f64_e32 v[6:7], s[0:1], v[28:29]
	v_add_f64 v[28:29], v[16:17], v[24:25]
	v_mul_f64 v[8:9], v[114:115], v[250:251]
	v_fmac_f64_e32 v[14:15], v[116:117], v[232:233]
	v_mul_f64 v[18:19], v[118:119], v[232:233]
	v_add_f64 v[88:89], v[36:37], v[30:31]
	v_add_f64 v[94:95], v[230:231], v[32:33]
	v_add_f64 v[100:101], v[36:37], -v[30:31]
	v_add_f64 v[106:107], v[230:231], -v[32:33]
	v_fma_f64 v[30:31], -0.5, v[28:29], v[2:3]
	v_add_f64 v[32:33], v[10:11], -v[12:13]
	v_fmac_f64_e32 v[8:9], v[112:113], v[248:249]
	v_fma_f64 v[18:19], v[116:117], v[234:235], -v[18:19]
	v_mul_f64 v[48:49], v[48:49], 0.5
	v_fma_f64 v[28:29], s[0:1], v[32:33], v[30:31]
	v_fmac_f64_e32 v[30:31], s[6:7], v[32:33]
	v_add_f64 v[32:33], v[20:21], v[14:15]
	v_fmac_f64_e32 v[48:49], s[0:1], v[46:47]
	v_fma_f64 v[46:47], -0.5, v[32:33], v[8:9]
	v_add_f64 v[32:33], v[26:27], -v[18:19]
	v_fma_f64 v[38:39], s[6:7], v[32:33], v[46:47]
	v_fmac_f64_e32 v[46:47], s[0:1], v[32:33]
	v_add_f64 v[32:33], v[26:27], v[18:19]
	v_add_f64 v[90:91], v[34:35], v[48:49]
	v_add_f64 v[102:103], v[34:35], -v[48:49]
	v_fma_f64 v[48:49], -0.5, v[32:33], v[22:23]
	v_add_f64 v[32:33], v[20:21], -v[14:15]
	v_fma_f64 v[36:37], s[0:1], v[32:33], v[48:49]
	v_fmac_f64_e32 v[48:49], s[6:7], v[32:33]
	v_mul_f64 v[32:33], v[36:37], s[6:7]
	v_mul_f64 v[36:37], v[36:37], 0.5
	v_fmac_f64_e32 v[32:33], 0.5, v[38:39]
	v_mul_f64 v[34:35], v[48:49], s[6:7]
	v_fmac_f64_e32 v[36:37], s[0:1], v[38:39]
	v_mul_f64 v[38:39], v[48:49], -0.5
	v_fmac_f64_e32 v[34:35], -0.5, v[46:47]
	v_fmac_f64_e32 v[38:39], s[0:1], v[46:47]
	v_fmac_f64_e32 v[50:51], -0.5, v[60:61]
	v_add_f64 v[60:61], v[4:5], -v[32:33]
	v_add_f64 v[64:65], v[6:7], -v[34:35]
	;; [unrolled: 1-line block ×4, first 2 shown]
	v_accvgpr_read_b32 v46, a74
	v_add_f64 v[92:93], v[228:229], v[50:51]
	v_add_f64 v[104:105], v[228:229], -v[50:51]
	s_waitcnt lgkmcnt(0)
	; wave barrier
	ds_write_b128 v46, v[40:43]
	ds_write_b128 v46, v[52:55] offset:48
	ds_write_b128 v46, v[68:71] offset:96
	;; [unrolled: 1-line block ×5, first 2 shown]
	ds_write_b128 v45, v[84:87]
	ds_write_b128 v45, v[88:91] offset:48
	ds_write_b128 v45, v[92:95] offset:96
	;; [unrolled: 1-line block ×5, first 2 shown]
	s_and_saveexec_b64 s[0:1], s[2:3]
	s_cbranch_execz .LBB0_25
; %bb.24:
	v_add_f64 v[2:3], v[24:25], v[2:3]
	v_add_f64 v[0:1], v[10:11], v[0:1]
	;; [unrolled: 1-line block ×9, first 2 shown]
	v_accvgpr_read_b32 v4, a7
	v_accvgpr_read_b32 v5, a73
	v_add_f64 v[2:3], v[16:17], -v[18:19]
	v_add_f64 v[0:1], v[22:23], -v[14:15]
	v_add_f64 v[16:17], v[16:17], v[18:19]
	v_add_f64 v[14:15], v[22:23], v[14:15]
	v_add_lshl_u32 v4, v5, v4, 4
	v_add_f64 v[8:9], v[30:31], v[38:39]
	v_add_f64 v[12:13], v[28:29], v[36:37]
	;; [unrolled: 1-line block ×3, first 2 shown]
	ds_write_b128 v4, v[14:17]
	ds_write_b128 v4, v[10:13] offset:48
	ds_write_b128 v4, v[6:9] offset:96
	ds_write_b128 v4, v[0:3] offset:144
	ds_write_b128 v4, v[60:63] offset:192
	ds_write_b128 v4, v[64:67] offset:240
.LBB0_25:
	s_or_b64 exec, exec, s[0:1]
	s_waitcnt lgkmcnt(0)
	; wave barrier
	s_waitcnt lgkmcnt(0)
	ds_read_b128 v[0:3], v44
	ds_read_b128 v[4:7], v44 offset:864
	ds_read_b128 v[8:11], v44 offset:1728
	;; [unrolled: 1-line block ×15, first 2 shown]
	s_waitcnt lgkmcnt(14)
	v_mul_f64 v[46:47], v[146:147], v[6:7]
	v_fmac_f64_e32 v[46:47], v[144:145], v[4:5]
	v_mul_f64 v[4:5], v[146:147], v[4:5]
	v_fma_f64 v[4:5], v[144:145], v[6:7], -v[4:5]
	s_waitcnt lgkmcnt(13)
	v_mul_f64 v[6:7], v[130:131], v[10:11]
	v_fmac_f64_e32 v[6:7], v[128:129], v[8:9]
	v_mul_f64 v[8:9], v[130:131], v[8:9]
	v_fma_f64 v[8:9], v[128:129], v[10:11], -v[8:9]
	;; [unrolled: 5-line block ×10, first 2 shown]
	s_waitcnt lgkmcnt(4)
	v_mul_f64 v[42:43], v[154:155], v[54:55]
	v_mul_f64 v[48:49], v[154:155], v[52:53]
	v_fmac_f64_e32 v[42:43], v[152:153], v[52:53]
	v_fma_f64 v[48:49], v[152:153], v[54:55], -v[48:49]
	s_waitcnt lgkmcnt(3)
	v_mul_f64 v[52:53], v[150:151], v[68:69]
	s_waitcnt lgkmcnt(2)
	v_mul_f64 v[54:55], v[178:179], v[74:75]
	v_mul_f64 v[50:51], v[150:151], v[70:71]
	v_fma_f64 v[52:53], v[148:149], v[70:71], -v[52:53]
	v_fmac_f64_e32 v[54:55], v[176:177], v[72:73]
	v_mul_f64 v[58:59], v[178:179], v[72:73]
	s_waitcnt lgkmcnt(1)
	v_mul_f64 v[70:71], v[170:171], v[76:77]
	s_waitcnt lgkmcnt(0)
	v_mul_f64 v[72:73], v[166:167], v[82:83]
	v_fmac_f64_e32 v[50:51], v[148:149], v[68:69]
	v_mul_f64 v[68:69], v[170:171], v[78:79]
	v_fma_f64 v[70:71], v[168:169], v[78:79], -v[70:71]
	v_fmac_f64_e32 v[72:73], v[164:165], v[80:81]
	v_fma_f64 v[58:59], v[176:177], v[74:75], -v[58:59]
	v_fmac_f64_e32 v[68:69], v[168:169], v[76:77]
	v_mul_f64 v[74:75], v[166:167], v[80:81]
	v_add_f64 v[30:31], v[0:1], -v[30:31]
	v_add_f64 v[52:53], v[16:17], -v[52:53]
	;; [unrolled: 1-line block ×8, first 2 shown]
	s_mov_b32 s0, 0x667f3bcd
	v_fma_f64 v[74:75], v[164:165], v[82:83], -v[74:75]
	v_add_f64 v[32:33], v[2:3], -v[32:33]
	v_add_f64 v[50:51], v[14:15], -v[50:51]
	v_fma_f64 v[16:17], v[16:17], 2.0, -v[52:53]
	v_add_f64 v[40:41], v[8:9], -v[40:41]
	v_add_f64 v[68:69], v[22:23], -v[68:69]
	v_fma_f64 v[24:25], v[24:25], 2.0, -v[70:71]
	v_fma_f64 v[46:47], v[46:47], 2.0, -v[34:35]
	;; [unrolled: 1-line block ×5, first 2 shown]
	v_add_f64 v[52:53], v[30:31], v[52:53]
	v_add_f64 v[70:71], v[38:39], v[70:71]
	s_mov_b32 s1, 0xbfe6a09e
	s_mov_b32 s3, 0x3fe6a09e
	;; [unrolled: 1-line block ×3, first 2 shown]
	v_fma_f64 v[0:1], v[0:1], 2.0, -v[30:31]
	v_fma_f64 v[14:15], v[14:15], 2.0, -v[50:51]
	;; [unrolled: 1-line block ×4, first 2 shown]
	v_add_f64 v[58:59], v[20:21], -v[58:59]
	v_add_f64 v[74:75], v[28:29], -v[74:75]
	;; [unrolled: 1-line block ×3, first 2 shown]
	v_fma_f64 v[30:31], v[30:31], 2.0, -v[52:53]
	v_add_f64 v[68:69], v[40:41], -v[68:69]
	v_fma_f64 v[38:39], v[38:39], 2.0, -v[70:71]
	v_add_f64 v[18:19], v[46:47], -v[18:19]
	v_add_f64 v[26:27], v[10:11], -v[26:27]
	v_fma_f64 v[88:89], s[2:3], v[70:71], v[52:53]
	v_fma_f64 v[2:3], v[2:3], 2.0, -v[32:33]
	v_fma_f64 v[8:9], v[8:9], 2.0, -v[40:41]
	v_add_f64 v[36:37], v[4:5], -v[36:37]
	v_fma_f64 v[20:21], v[20:21], 2.0, -v[58:59]
	v_add_f64 v[48:49], v[12:13], -v[48:49]
	;; [unrolled: 2-line block ×4, first 2 shown]
	v_fma_f64 v[40:41], v[40:41], 2.0, -v[68:69]
	v_fma_f64 v[46:47], v[46:47], 2.0, -v[18:19]
	v_add_f64 v[58:59], v[34:35], v[58:59]
	v_fma_f64 v[10:11], v[10:11], 2.0, -v[26:27]
	v_add_f64 v[74:75], v[42:43], v[74:75]
	v_fma_f64 v[80:81], s[0:1], v[38:39], v[30:31]
	v_fmac_f64_e32 v[88:89], s[2:3], v[68:69]
	v_fma_f64 v[0:1], v[0:1], 2.0, -v[14:15]
	v_fma_f64 v[6:7], v[6:7], 2.0, -v[22:23]
	v_add_f64 v[54:55], v[36:37], -v[54:55]
	v_fma_f64 v[34:35], v[34:35], 2.0, -v[58:59]
	v_add_f64 v[72:73], v[48:49], -v[72:73]
	v_fma_f64 v[42:43], v[42:43], 2.0, -v[74:75]
	v_fma_f64 v[82:83], s[0:1], v[40:41], v[32:33]
	v_fmac_f64_e32 v[80:81], s[2:3], v[40:41]
	v_fma_f64 v[40:41], v[52:53], 2.0, -v[88:89]
	v_add_f64 v[52:53], v[46:47], -v[10:11]
	v_fma_f64 v[4:5], v[4:5], 2.0, -v[36:37]
	v_fma_f64 v[12:13], v[12:13], 2.0, -v[48:49]
	v_add_f64 v[16:17], v[2:3], -v[16:17]
	v_fma_f64 v[36:37], v[36:37], 2.0, -v[54:55]
	v_fma_f64 v[48:49], v[48:49], 2.0, -v[72:73]
	v_add_f64 v[76:77], v[0:1], -v[6:7]
	v_fma_f64 v[90:91], s[2:3], v[68:69], v[50:51]
	v_fma_f64 v[6:7], v[46:47], 2.0, -v[52:53]
	v_fma_f64 v[46:47], s[0:1], v[42:43], v[34:35]
	v_add_f64 v[24:25], v[8:9], -v[24:25]
	v_add_f64 v[20:21], v[4:5], -v[20:21]
	;; [unrolled: 1-line block ×4, first 2 shown]
	v_fmac_f64_e32 v[90:91], s[0:1], v[70:71]
	v_fma_f64 v[70:71], s[0:1], v[48:49], v[36:37]
	v_fmac_f64_e32 v[46:47], s[2:3], v[48:49]
	s_mov_b32 s14, 0xcf328d46
	v_fma_f64 v[2:3], v[2:3], 2.0, -v[16:17]
	v_fma_f64 v[8:9], v[8:9], 2.0, -v[24:25]
	;; [unrolled: 1-line block ×4, first 2 shown]
	v_fmac_f64_e32 v[82:83], s[0:1], v[38:39]
	v_fma_f64 v[30:31], v[30:31], 2.0, -v[80:81]
	v_fma_f64 v[38:39], v[16:17], 2.0, -v[86:87]
	v_fmac_f64_e32 v[70:71], s[0:1], v[42:43]
	v_fma_f64 v[16:17], v[34:35], 2.0, -v[46:47]
	v_add_f64 v[92:93], v[20:21], -v[26:27]
	s_mov_b32 s15, 0xbfed906b
	s_mov_b32 s6, 0xa6aea964
	v_add_f64 v[78:79], v[2:3], -v[8:9]
	v_fma_f64 v[32:33], v[32:33], 2.0, -v[82:83]
	v_add_f64 v[84:85], v[14:15], v[24:25]
	v_add_f64 v[68:69], v[4:5], -v[12:13]
	v_fma_f64 v[22:23], v[36:37], 2.0, -v[70:71]
	v_add_f64 v[48:49], v[18:19], v[28:29]
	v_fma_f64 v[28:29], v[20:21], 2.0, -v[92:93]
	v_fma_f64 v[94:95], s[2:3], v[74:75], v[58:59]
	v_fma_f64 v[96:97], s[2:3], v[72:73], v[54:55]
	;; [unrolled: 1-line block ×3, first 2 shown]
	s_mov_b32 s7, 0x3fd87de2
	v_fma_f64 v[0:1], v[0:1], 2.0, -v[76:77]
	v_fma_f64 v[2:3], v[2:3], 2.0, -v[78:79]
	;; [unrolled: 1-line block ×5, first 2 shown]
	v_fmac_f64_e32 v[94:95], s[2:3], v[72:73]
	v_fmac_f64_e32 v[96:97], s[0:1], v[74:75]
	v_fma_f64 v[14:15], s[14:15], v[22:23], v[32:33]
	v_fmac_f64_e32 v[12:13], s[6:7], v[22:23]
	v_fma_f64 v[22:23], s[0:1], v[28:29], v[38:39]
	v_fma_f64 v[50:51], v[50:51], 2.0, -v[90:91]
	v_fma_f64 v[34:35], v[58:59], 2.0, -v[94:95]
	v_fma_f64 v[36:37], v[54:55], 2.0, -v[96:97]
	v_add_f64 v[4:5], v[0:1], -v[6:7]
	v_add_f64 v[6:7], v[2:3], -v[8:9]
	s_mov_b32 s17, 0xbfd87de2
	s_mov_b32 s16, s6
	v_fma_f64 v[20:21], s[0:1], v[26:27], v[24:25]
	v_fmac_f64_e32 v[22:23], s[0:1], v[26:27]
	s_mov_b32 s19, 0x3fed906b
	s_mov_b32 s18, s14
	v_fma_f64 v[8:9], v[0:1], 2.0, -v[4:5]
	v_fma_f64 v[10:11], v[2:3], 2.0, -v[6:7]
	v_fmac_f64_e32 v[14:15], s[16:17], v[16:17]
	v_fma_f64 v[16:17], v[30:31], 2.0, -v[12:13]
	v_fmac_f64_e32 v[20:21], s[2:3], v[28:29]
	v_fma_f64 v[26:27], v[38:39], 2.0, -v[22:23]
	v_fma_f64 v[28:29], s[16:17], v[34:35], v[40:41]
	v_fma_f64 v[30:31], s[16:17], v[36:37], v[50:51]
	v_add_f64 v[38:39], v[78:79], -v[52:53]
	v_fma_f64 v[52:53], s[6:7], v[46:47], v[80:81]
	v_fma_f64 v[54:55], s[6:7], v[70:71], v[82:83]
	;; [unrolled: 1-line block ×6, first 2 shown]
	v_fmac_f64_e32 v[28:29], s[18:19], v[36:37]
	v_fmac_f64_e32 v[30:31], s[14:15], v[34:35]
	v_add_f64 v[36:37], v[76:77], v[68:69]
	v_fmac_f64_e32 v[52:53], s[18:19], v[70:71]
	v_fmac_f64_e32 v[54:55], s[14:15], v[46:47]
	v_fmac_f64_e32 v[72:73], s[2:3], v[92:93]
	v_fmac_f64_e32 v[74:75], s[0:1], v[48:49]
	v_fmac_f64_e32 v[0:1], s[6:7], v[96:97]
	v_fmac_f64_e32 v[2:3], s[16:17], v[94:95]
	v_fma_f64 v[18:19], v[32:33], 2.0, -v[14:15]
	v_fma_f64 v[24:25], v[24:25], 2.0, -v[20:21]
	;; [unrolled: 1-line block ×12, first 2 shown]
	s_waitcnt lgkmcnt(0)
	; wave barrier
	ds_write_b128 v56, v[8:11]
	ds_write_b128 v56, v[16:19] offset:288
	ds_write_b128 v56, v[24:27] offset:576
	;; [unrolled: 1-line block ×15, first 2 shown]
	s_waitcnt lgkmcnt(0)
	; wave barrier
	s_waitcnt lgkmcnt(0)
	ds_read_b128 v[84:87], v44
	ds_read_b128 v[80:83], v44 offset:864
	ds_read_b128 v[36:39], v44 offset:9216
	;; [unrolled: 1-line block ×14, first 2 shown]
	s_and_saveexec_b64 s[0:1], s[4:5]
	s_cbranch_execz .LBB0_27
; %bb.26:
	ds_read_b128 v[0:3], v44 offset:4320
	ds_read_b128 v[60:63], v44 offset:8928
	;; [unrolled: 1-line block ×3, first 2 shown]
.LBB0_27:
	s_or_b64 exec, exec, s[0:1]
	s_waitcnt lgkmcnt(4)
	v_mul_f64 v[46:47], v[182:183], v[42:43]
	v_fmac_f64_e32 v[46:47], v[180:181], v[40:41]
	v_mul_f64 v[40:41], v[182:183], v[40:41]
	v_fma_f64 v[40:41], v[180:181], v[42:43], -v[40:41]
	v_mul_f64 v[42:43], v[186:187], v[38:39]
	v_fmac_f64_e32 v[42:43], v[184:185], v[36:37]
	v_mul_f64 v[36:37], v[186:187], v[36:37]
	v_fma_f64 v[36:37], v[184:185], v[38:39], -v[36:37]
	v_mul_f64 v[38:39], v[198:199], v[34:35]
	s_waitcnt lgkmcnt(0)
	v_mul_f64 v[92:93], v[226:227], v[6:7]
	v_fmac_f64_e32 v[38:39], v[196:197], v[32:33]
	v_mul_f64 v[32:33], v[198:199], v[32:33]
	v_mul_f64 v[88:89], v[222:223], v[10:11]
	v_fmac_f64_e32 v[92:93], v[224:225], v[4:5]
	v_mul_f64 v[4:5], v[226:227], v[4:5]
	v_fma_f64 v[32:33], v[196:197], v[34:35], -v[32:33]
	v_mul_f64 v[34:35], v[202:203], v[30:31]
	v_mul_f64 v[56:57], v[218:219], v[14:15]
	v_fmac_f64_e32 v[88:89], v[220:221], v[8:9]
	v_mul_f64 v[8:9], v[222:223], v[8:9]
	v_fma_f64 v[94:95], v[224:225], v[6:7], -v[4:5]
	v_add_f64 v[6:7], v[46:47], v[42:43]
	s_mov_b32 s0, 0xe8584caa
	v_fmac_f64_e32 v[34:35], v[200:201], v[28:29]
	v_mul_f64 v[28:29], v[202:203], v[28:29]
	v_mul_f64 v[48:49], v[210:211], v[18:19]
	v_fmac_f64_e32 v[56:57], v[216:217], v[12:13]
	v_mul_f64 v[12:13], v[218:219], v[12:13]
	v_fma_f64 v[90:91], v[220:221], v[10:11], -v[8:9]
	v_add_f64 v[4:5], v[84:85], v[46:47]
	v_fmac_f64_e32 v[84:85], -0.5, v[6:7]
	v_add_f64 v[6:7], v[40:41], -v[36:37]
	s_mov_b32 s1, 0xbfebb67a
	s_mov_b32 s3, 0x3febb67a
	;; [unrolled: 1-line block ×3, first 2 shown]
	v_add_f64 v[10:11], v[40:41], v[36:37]
	v_fma_f64 v[28:29], v[200:201], v[30:31], -v[28:29]
	v_mul_f64 v[30:31], v[206:207], v[26:27]
	v_fmac_f64_e32 v[48:49], v[208:209], v[16:17]
	v_mul_f64 v[16:17], v[210:211], v[16:17]
	v_fma_f64 v[58:59], v[216:217], v[14:15], -v[12:13]
	v_fma_f64 v[8:9], s[0:1], v[6:7], v[84:85]
	v_fmac_f64_e32 v[84:85], s[2:3], v[6:7]
	v_add_f64 v[6:7], v[86:87], v[40:41]
	v_fmac_f64_e32 v[86:87], -0.5, v[10:11]
	v_add_f64 v[12:13], v[46:47], -v[42:43]
	v_add_f64 v[14:15], v[38:39], v[34:35]
	v_fmac_f64_e32 v[30:31], v[204:205], v[24:25]
	v_mul_f64 v[24:25], v[206:207], v[24:25]
	v_fma_f64 v[50:51], v[208:209], v[18:19], -v[16:17]
	v_mul_f64 v[52:53], v[214:215], v[22:23]
	v_mul_f64 v[16:17], v[214:215], v[20:21]
	v_fma_f64 v[10:11], s[2:3], v[12:13], v[86:87]
	v_fmac_f64_e32 v[86:87], s[0:1], v[12:13]
	v_add_f64 v[12:13], v[80:81], v[38:39]
	v_fmac_f64_e32 v[80:81], -0.5, v[14:15]
	v_add_f64 v[14:15], v[32:33], -v[28:29]
	v_add_f64 v[18:19], v[32:33], v[28:29]
	v_fma_f64 v[26:27], v[204:205], v[26:27], -v[24:25]
	v_fmac_f64_e32 v[52:53], v[212:213], v[20:21]
	v_fma_f64 v[54:55], v[212:213], v[22:23], -v[16:17]
	v_fma_f64 v[16:17], s[0:1], v[14:15], v[80:81]
	v_fmac_f64_e32 v[80:81], s[2:3], v[14:15]
	v_add_f64 v[14:15], v[82:83], v[32:33]
	v_fmac_f64_e32 v[82:83], -0.5, v[18:19]
	v_add_f64 v[20:21], v[38:39], -v[34:35]
	v_add_f64 v[22:23], v[30:31], v[48:49]
	v_fma_f64 v[18:19], s[2:3], v[20:21], v[82:83]
	v_fmac_f64_e32 v[82:83], s[0:1], v[20:21]
	v_add_f64 v[20:21], v[76:77], v[30:31]
	v_fmac_f64_e32 v[76:77], -0.5, v[22:23]
	v_add_f64 v[22:23], v[26:27], -v[50:51]
	v_fma_f64 v[24:25], s[0:1], v[22:23], v[76:77]
	v_fmac_f64_e32 v[76:77], s[2:3], v[22:23]
	v_add_f64 v[22:23], v[78:79], v[26:27]
	v_add_f64 v[26:27], v[26:27], v[50:51]
	;; [unrolled: 1-line block ×3, first 2 shown]
	v_fmac_f64_e32 v[78:79], -0.5, v[26:27]
	v_add_f64 v[28:29], v[30:31], -v[48:49]
	v_add_f64 v[30:31], v[52:53], v[56:57]
	v_add_f64 v[12:13], v[12:13], v[34:35]
	v_fma_f64 v[26:27], s[2:3], v[28:29], v[78:79]
	v_fmac_f64_e32 v[78:79], s[0:1], v[28:29]
	v_add_f64 v[28:29], v[72:73], v[52:53]
	v_fmac_f64_e32 v[72:73], -0.5, v[30:31]
	v_add_f64 v[30:31], v[54:55], -v[58:59]
	v_add_f64 v[34:35], v[54:55], v[58:59]
	v_add_f64 v[6:7], v[6:7], v[36:37]
	v_fma_f64 v[32:33], s[0:1], v[30:31], v[72:73]
	v_fmac_f64_e32 v[72:73], s[2:3], v[30:31]
	v_add_f64 v[30:31], v[74:75], v[54:55]
	;; [unrolled: 7-line block ×3, first 2 shown]
	v_fmac_f64_e32 v[68:69], -0.5, v[38:39]
	v_add_f64 v[38:39], v[90:91], -v[94:95]
	v_add_f64 v[42:43], v[90:91], v[94:95]
	v_fma_f64 v[40:41], s[0:1], v[38:39], v[68:69]
	v_fmac_f64_e32 v[68:69], s[2:3], v[38:39]
	v_add_f64 v[38:39], v[70:71], v[90:91]
	v_fmac_f64_e32 v[70:71], -0.5, v[42:43]
	v_add_f64 v[46:47], v[88:89], -v[92:93]
	v_add_f64 v[20:21], v[20:21], v[48:49]
	v_add_f64 v[22:23], v[22:23], v[50:51]
	;; [unrolled: 1-line block ×6, first 2 shown]
	v_fma_f64 v[42:43], s[2:3], v[46:47], v[70:71]
	v_fmac_f64_e32 v[70:71], s[0:1], v[46:47]
	ds_write_b128 v44, v[4:7]
	ds_write_b128 v44, v[8:11] offset:4608
	ds_write_b128 v44, v[84:87] offset:9216
	;; [unrolled: 1-line block ×14, first 2 shown]
	s_and_saveexec_b64 s[6:7], s[4:5]
	s_cbranch_execz .LBB0_29
; %bb.28:
	v_accvgpr_read_b32 v12, a76
	v_accvgpr_read_b32 v14, a78
	;; [unrolled: 1-line block ×5, first 2 shown]
	v_mul_f64 v[4:5], v[14:15], v[60:61]
	v_accvgpr_read_b32 v20, a82
	v_accvgpr_read_b32 v21, a83
	v_fma_f64 v[6:7], v[12:13], v[62:63], -v[4:5]
	v_accvgpr_read_b32 v19, a81
	v_mul_f64 v[4:5], v[20:21], v[64:65]
	v_fma_f64 v[10:11], v[18:19], v[66:67], -v[4:5]
	v_mul_f64 v[14:15], v[14:15], v[62:63]
	v_mul_f64 v[16:17], v[20:21], v[66:67]
	v_add_f64 v[4:5], v[6:7], v[10:11]
	v_fmac_f64_e32 v[14:15], v[12:13], v[60:61]
	v_fmac_f64_e32 v[16:17], v[18:19], v[64:65]
	v_fma_f64 v[4:5], -0.5, v[4:5], v[2:3]
	v_add_f64 v[12:13], v[14:15], -v[16:17]
	v_add_f64 v[2:3], v[2:3], v[6:7]
	v_fma_f64 v[8:9], s[0:1], v[12:13], v[4:5]
	v_fmac_f64_e32 v[4:5], s[2:3], v[12:13]
	v_add_f64 v[12:13], v[2:3], v[10:11]
	v_add_f64 v[2:3], v[14:15], v[16:17]
	v_fma_f64 v[2:3], -0.5, v[2:3], v[0:1]
	v_add_f64 v[10:11], v[6:7], -v[10:11]
	v_add_f64 v[0:1], v[0:1], v[14:15]
	v_fma_f64 v[6:7], s[2:3], v[10:11], v[2:3]
	v_fmac_f64_e32 v[2:3], s[0:1], v[10:11]
	v_add_f64 v[10:11], v[0:1], v[16:17]
	ds_write_b128 v44, v[10:13] offset:4320
	ds_write_b128 v44, v[2:5] offset:8928
	;; [unrolled: 1-line block ×3, first 2 shown]
.LBB0_29:
	s_or_b64 exec, exec, s[6:7]
	s_waitcnt lgkmcnt(0)
	; wave barrier
	s_waitcnt lgkmcnt(0)
	ds_read_b128 v[0:3], v44
	v_accvgpr_read_b32 v6, a62
	v_mad_u64_u32 v[14:15], s[0:1], s10, v6, 0
	v_mov_b32_e32 v4, v15
	v_accvgpr_read_b32 v16, a64
	v_mad_u64_u32 v[4:5], s[0:1], s11, v6, v[4:5]
	v_accvgpr_read_b32 v18, a66
	v_accvgpr_read_b32 v19, a67
	v_mov_b32_e32 v15, v4
	ds_read_b128 v[4:7], v44 offset:864
	v_accvgpr_read_b32 v17, a65
	s_waitcnt lgkmcnt(1)
	v_mul_f64 v[8:9], v[18:19], v[2:3]
	v_fmac_f64_e32 v[8:9], v[16:17], v[0:1]
	s_mov_b32 s0, 0xbda12f68
	v_mul_f64 v[0:1], v[18:19], v[0:1]
	s_mov_b32 s1, 0x3f52f684
	v_fma_f64 v[0:1], v[16:17], v[2:3], -v[0:1]
	v_mad_u64_u32 v[16:17], s[2:3], s8, v192, 0
	v_mul_f64 v[10:11], v[0:1], s[0:1]
	v_mov_b32_e32 v0, v17
	v_mad_u64_u32 v[0:1], s[2:3], s9, v192, v[0:1]
	v_mov_b32_e32 v17, v0
	ds_read_b128 v[0:3], v44 offset:4608
	v_mov_b32_e32 v12, s12
	v_mov_b32_e32 v13, s13
	v_lshl_add_u64 v[20:21], v[14:15], 4, v[12:13]
	v_accvgpr_read_b32 v25, a5
	v_mul_f64 v[8:9], v[8:9], s[0:1]
	v_lshl_add_u64 v[16:17], v[16:17], 4, v[20:21]
	v_accvgpr_read_b32 v24, a4
	global_store_dwordx4 v[16:17], v[8:11], off
	ds_read_b128 v[8:11], v44 offset:3456
	v_accvgpr_read_b32 v23, a3
	v_accvgpr_read_b32 v22, a2
	s_waitcnt lgkmcnt(1)
	v_mul_f64 v[12:13], v[24:25], v[2:3]
	v_fmac_f64_e32 v[12:13], v[22:23], v[0:1]
	v_mul_f64 v[0:1], v[24:25], v[0:1]
	v_fma_f64 v[0:1], v[22:23], v[2:3], -v[0:1]
	v_mul_f64 v[14:15], v[0:1], s[0:1]
	ds_read_b128 v[0:3], v44 offset:9216
	s_mul_i32 s2, s9, 0x120
	s_mul_hi_u32 s3, s8, 0x120
	s_add_i32 s3, s3, s2
	s_mul_i32 s2, s8, 0x120
	s_lshl_b64 s[2:3], s[2:3], 4
	v_accvgpr_read_b32 v27, a11
	v_mul_f64 v[12:13], v[12:13], s[0:1]
	v_lshl_add_u64 v[22:23], v[16:17], 0, s[2:3]
	v_accvgpr_read_b32 v26, a10
	global_store_dwordx4 v[22:23], v[12:15], off
	ds_read_b128 v[12:15], v44 offset:10080
	v_accvgpr_read_b32 v25, a9
	v_accvgpr_read_b32 v24, a8
	s_waitcnt lgkmcnt(1)
	v_mul_f64 v[16:17], v[26:27], v[2:3]
	v_fmac_f64_e32 v[16:17], v[24:25], v[0:1]
	v_mul_f64 v[0:1], v[26:27], v[0:1]
	v_fma_f64 v[0:1], v[24:25], v[2:3], -v[0:1]
	v_accvgpr_read_b32 v3, a6
	v_mul_f64 v[18:19], v[0:1], s[0:1]
	v_mad_u64_u32 v[0:1], s[6:7], s8, v3, 0
	v_mov_b32_e32 v2, v1
	v_mad_u64_u32 v[2:3], s[6:7], s9, v3, v[2:3]
	v_mov_b32_e32 v1, v2
	v_mul_f64 v[16:17], v[16:17], s[0:1]
	v_lshl_add_u64 v[0:1], v[0:1], 4, v[20:21]
	global_store_dwordx4 v[0:1], v[16:19], off
	s_nop 1
	v_accvgpr_read_b32 v19, a15
	v_accvgpr_read_b32 v18, a14
	;; [unrolled: 1-line block ×4, first 2 shown]
	v_mul_f64 v[0:1], v[18:19], v[6:7]
	v_fmac_f64_e32 v[0:1], v[16:17], v[4:5]
	v_mul_f64 v[2:3], v[18:19], v[4:5]
	v_mov_b32_e32 v4, 0xfffff160
	v_fma_f64 v[2:3], v[16:17], v[6:7], -v[2:3]
	v_mad_u64_u32 v[20:21], s[6:7], s8, v4, v[22:23]
	ds_read_b128 v[4:7], v44 offset:5472
	s_mul_i32 s6, s9, 0xfffff160
	s_sub_i32 s6, s6, s8
	v_accvgpr_read_b32 v25, a19
	v_mul_f64 v[0:1], v[0:1], s[0:1]
	v_mul_f64 v[2:3], v[2:3], s[0:1]
	v_add_u32_e32 v21, s6, v21
	v_accvgpr_read_b32 v24, a18
	global_store_dwordx4 v[20:21], v[0:3], off
	ds_read_b128 v[0:3], v44 offset:6336
	v_accvgpr_read_b32 v23, a17
	v_accvgpr_read_b32 v22, a16
	s_waitcnt lgkmcnt(1)
	v_mul_f64 v[16:17], v[24:25], v[6:7]
	v_fmac_f64_e32 v[16:17], v[22:23], v[4:5]
	v_mul_f64 v[4:5], v[24:25], v[4:5]
	v_fma_f64 v[4:5], v[22:23], v[6:7], -v[4:5]
	v_mul_f64 v[16:17], v[16:17], s[0:1]
	v_mul_f64 v[18:19], v[4:5], s[0:1]
	v_lshl_add_u64 v[20:21], v[20:21], 0, s[2:3]
	global_store_dwordx4 v[20:21], v[16:19], off
	v_accvgpr_read_b32 v22, a22
	v_lshl_add_u64 v[20:21], v[20:21], 0, s[2:3]
	v_accvgpr_read_b32 v16, a26
	v_accvgpr_read_b32 v18, a28
	;; [unrolled: 1-line block ×4, first 2 shown]
	v_mul_f64 v[4:5], v[18:19], v[14:15]
	v_mul_f64 v[6:7], v[18:19], v[12:13]
	v_fmac_f64_e32 v[4:5], v[16:17], v[12:13]
	v_fma_f64 v[6:7], v[16:17], v[14:15], -v[6:7]
	ds_read_b128 v[12:15], v44 offset:1728
	v_mul_f64 v[4:5], v[4:5], s[0:1]
	v_mul_f64 v[6:7], v[6:7], s[0:1]
	v_accvgpr_read_b32 v24, a24
	v_accvgpr_read_b32 v25, a25
	s_mul_hi_u32 s7, s8, 0xfffffdf6
	global_store_dwordx4 v[20:21], v[4:7], off
	ds_read_b128 v[4:7], v44 offset:2592
	v_accvgpr_read_b32 v23, a23
	s_waitcnt lgkmcnt(1)
	v_mul_f64 v[16:17], v[24:25], v[14:15]
	s_mul_i32 s6, s9, 0xfffffdf6
	s_sub_i32 s7, s7, s8
	v_fmac_f64_e32 v[16:17], v[22:23], v[12:13]
	v_mul_f64 v[12:13], v[24:25], v[12:13]
	s_add_i32 s7, s7, s6
	s_mul_i32 s6, s8, 0xfffffdf6
	v_fma_f64 v[12:13], v[22:23], v[14:15], -v[12:13]
	s_lshl_b64 s[8:9], s[6:7], 4
	v_mul_f64 v[16:17], v[16:17], s[0:1]
	v_mul_f64 v[18:19], v[12:13], s[0:1]
	v_lshl_add_u64 v[20:21], v[20:21], 0, s[8:9]
	global_store_dwordx4 v[20:21], v[16:19], off
	v_accvgpr_read_b32 v14, a30
	v_accvgpr_read_b32 v15, a31
	;; [unrolled: 1-line block ×4, first 2 shown]
	v_mul_f64 v[12:13], v[16:17], v[2:3]
	v_fmac_f64_e32 v[12:13], v[14:15], v[0:1]
	v_mul_f64 v[0:1], v[16:17], v[0:1]
	v_fma_f64 v[14:15], v[14:15], v[2:3], -v[0:1]
	ds_read_b128 v[0:3], v44 offset:10944
	v_accvgpr_read_b32 v22, a34
	v_mul_f64 v[12:13], v[12:13], s[0:1]
	v_mul_f64 v[14:15], v[14:15], s[0:1]
	v_lshl_add_u64 v[20:21], v[20:21], 0, s[2:3]
	v_accvgpr_read_b32 v24, a36
	v_accvgpr_read_b32 v25, a37
	global_store_dwordx4 v[20:21], v[12:15], off
	ds_read_b128 v[12:15], v44 offset:11808
	v_accvgpr_read_b32 v23, a35
	s_waitcnt lgkmcnt(1)
	v_mul_f64 v[16:17], v[24:25], v[2:3]
	v_fmac_f64_e32 v[16:17], v[22:23], v[0:1]
	v_mul_f64 v[0:1], v[24:25], v[0:1]
	v_fma_f64 v[0:1], v[22:23], v[2:3], -v[0:1]
	v_mul_f64 v[16:17], v[16:17], s[0:1]
	v_mul_f64 v[18:19], v[0:1], s[0:1]
	v_lshl_add_u64 v[20:21], v[20:21], 0, s[2:3]
	global_store_dwordx4 v[20:21], v[16:19], off
	v_accvgpr_read_b32 v22, a38
	v_lshl_add_u64 v[20:21], v[20:21], 0, s[8:9]
	v_accvgpr_read_b32 v16, a42
	v_accvgpr_read_b32 v18, a44
	;; [unrolled: 1-line block ×4, first 2 shown]
	v_mul_f64 v[0:1], v[18:19], v[6:7]
	v_mul_f64 v[2:3], v[18:19], v[4:5]
	v_fmac_f64_e32 v[0:1], v[16:17], v[4:5]
	v_fma_f64 v[2:3], v[16:17], v[6:7], -v[2:3]
	ds_read_b128 v[4:7], v44 offset:7200
	v_mul_f64 v[0:1], v[0:1], s[0:1]
	v_mul_f64 v[2:3], v[2:3], s[0:1]
	v_accvgpr_read_b32 v24, a40
	v_accvgpr_read_b32 v25, a41
	global_store_dwordx4 v[20:21], v[0:3], off
	ds_read_b128 v[0:3], v44 offset:8064
	v_accvgpr_read_b32 v23, a39
	s_waitcnt lgkmcnt(1)
	v_mul_f64 v[16:17], v[24:25], v[6:7]
	v_fmac_f64_e32 v[16:17], v[22:23], v[4:5]
	v_mul_f64 v[4:5], v[24:25], v[4:5]
	v_fma_f64 v[4:5], v[22:23], v[6:7], -v[4:5]
	v_mul_f64 v[16:17], v[16:17], s[0:1]
	v_mul_f64 v[18:19], v[4:5], s[0:1]
	v_lshl_add_u64 v[20:21], v[20:21], 0, s[2:3]
	global_store_dwordx4 v[20:21], v[16:19], off
	s_nop 1
	v_accvgpr_read_b32 v16, a46
	v_accvgpr_read_b32 v18, a48
	;; [unrolled: 1-line block ×4, first 2 shown]
	v_mul_f64 v[4:5], v[18:19], v[14:15]
	v_mul_f64 v[6:7], v[18:19], v[12:13]
	v_fmac_f64_e32 v[4:5], v[16:17], v[12:13]
	v_fma_f64 v[6:7], v[16:17], v[14:15], -v[6:7]
	v_accvgpr_read_b32 v14, a50
	v_mul_f64 v[4:5], v[4:5], s[0:1]
	v_mul_f64 v[6:7], v[6:7], s[0:1]
	v_lshl_add_u64 v[12:13], v[20:21], 0, s[2:3]
	v_accvgpr_read_b32 v16, a52
	v_accvgpr_read_b32 v17, a53
	global_store_dwordx4 v[12:13], v[4:7], off
	v_accvgpr_read_b32 v15, a51
	v_lshl_add_u64 v[12:13], v[12:13], 0, s[8:9]
	v_mul_f64 v[4:5], v[16:17], v[10:11]
	v_mul_f64 v[6:7], v[16:17], v[8:9]
	v_fmac_f64_e32 v[4:5], v[14:15], v[8:9]
	v_fma_f64 v[6:7], v[14:15], v[10:11], -v[6:7]
	v_mul_f64 v[4:5], v[4:5], s[0:1]
	v_mul_f64 v[6:7], v[6:7], s[0:1]
	global_store_dwordx4 v[12:13], v[4:7], off
	s_nop 1
	v_accvgpr_read_b32 v6, a54
	v_accvgpr_read_b32 v8, a56
	;; [unrolled: 1-line block ×4, first 2 shown]
	s_waitcnt lgkmcnt(0)
	v_mul_f64 v[4:5], v[8:9], v[2:3]
	v_fmac_f64_e32 v[4:5], v[6:7], v[0:1]
	v_mul_f64 v[0:1], v[8:9], v[0:1]
	ds_read_b128 v[8:11], v44 offset:12672
	v_fma_f64 v[0:1], v[6:7], v[2:3], -v[0:1]
	v_mul_f64 v[6:7], v[0:1], s[0:1]
	v_lshl_add_u64 v[0:1], v[12:13], 0, s[2:3]
	v_accvgpr_read_b32 v12, a58
	v_mul_f64 v[4:5], v[4:5], s[0:1]
	v_accvgpr_read_b32 v14, a60
	v_accvgpr_read_b32 v15, a61
	global_store_dwordx4 v[0:1], v[4:7], off
	v_accvgpr_read_b32 v13, a59
	s_waitcnt lgkmcnt(0)
	v_mul_f64 v[2:3], v[14:15], v[10:11]
	v_mul_f64 v[4:5], v[14:15], v[8:9]
	v_fmac_f64_e32 v[2:3], v[12:13], v[8:9]
	v_fma_f64 v[4:5], v[12:13], v[10:11], -v[4:5]
	v_mul_f64 v[2:3], v[2:3], s[0:1]
	v_mul_f64 v[4:5], v[4:5], s[0:1]
	v_lshl_add_u64 v[0:1], v[0:1], 0, s[2:3]
	global_store_dwordx4 v[0:1], v[2:5], off
	s_and_b64 exec, exec, s[4:5]
	s_cbranch_execz .LBB0_31
; %bb.30:
	v_accvgpr_read_b32 v19, a1
	v_accvgpr_read_b32 v18, a0
	v_add_co_u32_e32 v2, vcc, 0x1000, v18
	v_lshl_add_u64 v[14:15], s[6:7], 4, v[0:1]
	s_nop 0
	v_addc_co_u32_e32 v3, vcc, 0, v19, vcc
	global_load_dwordx4 v[2:5], v[2:3], off offset:224
	ds_read_b128 v[6:9], v44 offset:4320
	ds_read_b128 v[10:13], v44 offset:8928
	s_movk_i32 s4, 0x2000
	v_add_co_u32_e32 v16, vcc, s4, v18
	s_movk_i32 s4, 0x3000
	s_nop 0
	v_addc_co_u32_e32 v17, vcc, 0, v19, vcc
	s_waitcnt vmcnt(0) lgkmcnt(1)
	v_mul_f64 v[0:1], v[8:9], v[4:5]
	v_mul_f64 v[4:5], v[6:7], v[4:5]
	v_fmac_f64_e32 v[0:1], v[6:7], v[2:3]
	v_fma_f64 v[2:3], v[2:3], v[8:9], -v[4:5]
	v_mul_f64 v[0:1], v[0:1], s[0:1]
	v_mul_f64 v[2:3], v[2:3], s[0:1]
	global_store_dwordx4 v[14:15], v[0:3], off
	global_load_dwordx4 v[0:3], v[16:17], off offset:736
	v_lshl_add_u64 v[8:9], v[14:15], 0, s[2:3]
	v_add_co_u32_e32 v4, vcc, s4, v18
	s_waitcnt vmcnt(0) lgkmcnt(0)
	v_mul_f64 v[6:7], v[12:13], v[2:3]
	v_mul_f64 v[2:3], v[10:11], v[2:3]
	v_fmac_f64_e32 v[6:7], v[10:11], v[0:1]
	v_fma_f64 v[2:3], v[0:1], v[12:13], -v[2:3]
	v_mul_f64 v[0:1], v[6:7], s[0:1]
	v_mul_f64 v[2:3], v[2:3], s[0:1]
	v_addc_co_u32_e32 v5, vcc, 0, v19, vcc
	global_store_dwordx4 v[8:9], v[0:3], off
	global_load_dwordx4 v[0:3], v[4:5], off offset:1248
	ds_read_b128 v[4:7], v44 offset:13536
	s_waitcnt vmcnt(0) lgkmcnt(0)
	v_mul_f64 v[10:11], v[6:7], v[2:3]
	v_mul_f64 v[2:3], v[4:5], v[2:3]
	v_fmac_f64_e32 v[10:11], v[4:5], v[0:1]
	v_fma_f64 v[2:3], v[0:1], v[6:7], -v[2:3]
	v_mul_f64 v[0:1], v[10:11], s[0:1]
	v_mul_f64 v[2:3], v[2:3], s[0:1]
	v_lshl_add_u64 v[4:5], v[8:9], 0, s[2:3]
	global_store_dwordx4 v[4:5], v[0:3], off
.LBB0_31:
	s_endpgm
	.section	.rodata,"a",@progbits
	.p2align	6, 0x0
	.amdhsa_kernel bluestein_single_back_len864_dim1_dp_op_CI_CI
		.amdhsa_group_segment_fixed_size 13824
		.amdhsa_private_segment_fixed_size 0
		.amdhsa_kernarg_size 104
		.amdhsa_user_sgpr_count 2
		.amdhsa_user_sgpr_dispatch_ptr 0
		.amdhsa_user_sgpr_queue_ptr 0
		.amdhsa_user_sgpr_kernarg_segment_ptr 1
		.amdhsa_user_sgpr_dispatch_id 0
		.amdhsa_user_sgpr_kernarg_preload_length 0
		.amdhsa_user_sgpr_kernarg_preload_offset 0
		.amdhsa_user_sgpr_private_segment_size 0
		.amdhsa_uses_dynamic_stack 0
		.amdhsa_enable_private_segment 0
		.amdhsa_system_sgpr_workgroup_id_x 1
		.amdhsa_system_sgpr_workgroup_id_y 0
		.amdhsa_system_sgpr_workgroup_id_z 0
		.amdhsa_system_sgpr_workgroup_info 0
		.amdhsa_system_vgpr_workitem_id 0
		.amdhsa_next_free_vgpr 340
		.amdhsa_next_free_sgpr 26
		.amdhsa_accum_offset 256
		.amdhsa_reserve_vcc 1
		.amdhsa_float_round_mode_32 0
		.amdhsa_float_round_mode_16_64 0
		.amdhsa_float_denorm_mode_32 3
		.amdhsa_float_denorm_mode_16_64 3
		.amdhsa_dx10_clamp 1
		.amdhsa_ieee_mode 1
		.amdhsa_fp16_overflow 0
		.amdhsa_tg_split 0
		.amdhsa_exception_fp_ieee_invalid_op 0
		.amdhsa_exception_fp_denorm_src 0
		.amdhsa_exception_fp_ieee_div_zero 0
		.amdhsa_exception_fp_ieee_overflow 0
		.amdhsa_exception_fp_ieee_underflow 0
		.amdhsa_exception_fp_ieee_inexact 0
		.amdhsa_exception_int_div_zero 0
	.end_amdhsa_kernel
	.text
.Lfunc_end0:
	.size	bluestein_single_back_len864_dim1_dp_op_CI_CI, .Lfunc_end0-bluestein_single_back_len864_dim1_dp_op_CI_CI
                                        ; -- End function
	.section	.AMDGPU.csdata,"",@progbits
; Kernel info:
; codeLenInByte = 18552
; NumSgprs: 32
; NumVgprs: 256
; NumAgprs: 84
; TotalNumVgprs: 340
; ScratchSize: 0
; MemoryBound: 0
; FloatMode: 240
; IeeeMode: 1
; LDSByteSize: 13824 bytes/workgroup (compile time only)
; SGPRBlocks: 3
; VGPRBlocks: 42
; NumSGPRsForWavesPerEU: 32
; NumVGPRsForWavesPerEU: 340
; AccumOffset: 256
; Occupancy: 1
; WaveLimiterHint : 1
; COMPUTE_PGM_RSRC2:SCRATCH_EN: 0
; COMPUTE_PGM_RSRC2:USER_SGPR: 2
; COMPUTE_PGM_RSRC2:TRAP_HANDLER: 0
; COMPUTE_PGM_RSRC2:TGID_X_EN: 1
; COMPUTE_PGM_RSRC2:TGID_Y_EN: 0
; COMPUTE_PGM_RSRC2:TGID_Z_EN: 0
; COMPUTE_PGM_RSRC2:TIDIG_COMP_CNT: 0
; COMPUTE_PGM_RSRC3_GFX90A:ACCUM_OFFSET: 63
; COMPUTE_PGM_RSRC3_GFX90A:TG_SPLIT: 0
	.text
	.p2alignl 6, 3212836864
	.fill 256, 4, 3212836864
	.type	__hip_cuid_b09ad3f4083dc491,@object ; @__hip_cuid_b09ad3f4083dc491
	.section	.bss,"aw",@nobits
	.globl	__hip_cuid_b09ad3f4083dc491
__hip_cuid_b09ad3f4083dc491:
	.byte	0                               ; 0x0
	.size	__hip_cuid_b09ad3f4083dc491, 1

	.ident	"AMD clang version 19.0.0git (https://github.com/RadeonOpenCompute/llvm-project roc-6.4.0 25133 c7fe45cf4b819c5991fe208aaa96edf142730f1d)"
	.section	".note.GNU-stack","",@progbits
	.addrsig
	.addrsig_sym __hip_cuid_b09ad3f4083dc491
	.amdgpu_metadata
---
amdhsa.kernels:
  - .agpr_count:     84
    .args:
      - .actual_access:  read_only
        .address_space:  global
        .offset:         0
        .size:           8
        .value_kind:     global_buffer
      - .actual_access:  read_only
        .address_space:  global
        .offset:         8
        .size:           8
        .value_kind:     global_buffer
      - .actual_access:  read_only
        .address_space:  global
        .offset:         16
        .size:           8
        .value_kind:     global_buffer
      - .actual_access:  read_only
        .address_space:  global
        .offset:         24
        .size:           8
        .value_kind:     global_buffer
      - .actual_access:  read_only
        .address_space:  global
        .offset:         32
        .size:           8
        .value_kind:     global_buffer
      - .offset:         40
        .size:           8
        .value_kind:     by_value
      - .address_space:  global
        .offset:         48
        .size:           8
        .value_kind:     global_buffer
      - .address_space:  global
        .offset:         56
        .size:           8
        .value_kind:     global_buffer
      - .address_space:  global
        .offset:         64
        .size:           8
        .value_kind:     global_buffer
      - .address_space:  global
        .offset:         72
        .size:           8
        .value_kind:     global_buffer
      - .offset:         80
        .size:           4
        .value_kind:     by_value
      - .address_space:  global
        .offset:         88
        .size:           8
        .value_kind:     global_buffer
      - .address_space:  global
        .offset:         96
        .size:           8
        .value_kind:     global_buffer
    .group_segment_fixed_size: 13824
    .kernarg_segment_align: 8
    .kernarg_segment_size: 104
    .language:       OpenCL C
    .language_version:
      - 2
      - 0
    .max_flat_workgroup_size: 54
    .name:           bluestein_single_back_len864_dim1_dp_op_CI_CI
    .private_segment_fixed_size: 0
    .sgpr_count:     32
    .sgpr_spill_count: 0
    .symbol:         bluestein_single_back_len864_dim1_dp_op_CI_CI.kd
    .uniform_work_group_size: 1
    .uses_dynamic_stack: false
    .vgpr_count:     340
    .vgpr_spill_count: 0
    .wavefront_size: 64
amdhsa.target:   amdgcn-amd-amdhsa--gfx950
amdhsa.version:
  - 1
  - 2
...

	.end_amdgpu_metadata
